;; amdgpu-corpus repo=ROCm/rocFFT kind=compiled arch=gfx1030 opt=O3
	.text
	.amdgcn_target "amdgcn-amd-amdhsa--gfx1030"
	.amdhsa_code_object_version 6
	.protected	bluestein_single_back_len85_dim1_dp_op_CI_CI ; -- Begin function bluestein_single_back_len85_dim1_dp_op_CI_CI
	.globl	bluestein_single_back_len85_dim1_dp_op_CI_CI
	.p2align	8
	.type	bluestein_single_back_len85_dim1_dp_op_CI_CI,@function
bluestein_single_back_len85_dim1_dp_op_CI_CI: ; @bluestein_single_back_len85_dim1_dp_op_CI_CI
; %bb.0:
	s_mov_b64 s[58:59], s[2:3]
	s_mov_b64 s[56:57], s[0:1]
	s_load_dwordx4 s[0:3], s[4:5], 0x28
	v_mul_u32_u24_e32 v1, 0xf10, v0
	s_add_u32 s56, s56, s7
	s_addc_u32 s57, s57, 0
	v_lshrrev_b32_e32 v1, 16, v1
	v_mad_u64_u32 v[116:117], null, s6, 15, v[1:2]
	v_mov_b32_e32 v117, 0
	s_waitcnt lgkmcnt(0)
	v_cmp_gt_u64_e32 vcc_lo, s[0:1], v[116:117]
	s_and_saveexec_b32 s0, vcc_lo
	s_cbranch_execz .LBB0_15
; %bb.1:
	v_mul_hi_u32 v2, 0x88888889, v116
	v_mul_lo_u16 v1, v1, 17
	s_clause 0x1
	s_load_dwordx2 s[6:7], s[4:5], 0x0
	s_load_dwordx2 s[12:13], s[4:5], 0x38
	v_sub_nc_u16 v0, v0, v1
	v_lshrrev_b32_e32 v2, 3, v2
	v_and_b32_e32 v177, 0xffff, v0
	v_cmp_gt_u16_e32 vcc_lo, 5, v0
	v_mul_lo_u32 v2, v2, 15
	v_or_b32_e32 v0, 40, v177
	v_lshlrev_b32_e32 v255, 4, v177
	v_sub_nc_u32_e32 v1, v116, v2
	v_mul_u32_u24_e32 v1, 0x55, v1
	buffer_store_dword v0, off, s[56:59], 0 offset:12 ; 4-byte Folded Spill
	buffer_store_dword v1, off, s[56:59], 0 ; 4-byte Folded Spill
	v_lshlrev_b32_e32 v0, 4, v1
	buffer_store_dword v0, off, s[56:59], 0 offset:4 ; 4-byte Folded Spill
	v_or_b32_e32 v0, 0x50, v177
	buffer_store_dword v0, off, s[56:59], 0 offset:8 ; 4-byte Folded Spill
	s_and_saveexec_b32 s1, vcc_lo
	s_cbranch_execz .LBB0_3
; %bb.2:
	s_waitcnt lgkmcnt(0)
	global_load_dwordx4 v[4:7], v255, s[6:7] offset:1280
	s_load_dwordx2 s[8:9], s[4:5], 0x18
	v_or_b32_e32 v40, 40, v177
	s_waitcnt lgkmcnt(0)
	s_load_dwordx4 s[8:11], s[8:9], 0x0
	s_clause 0x5
	global_load_dwordx4 v[8:11], v255, s[6:7]
	global_load_dwordx4 v[12:15], v255, s[6:7] offset:80
	global_load_dwordx4 v[16:19], v255, s[6:7] offset:160
	;; [unrolled: 1-line block ×5, first 2 shown]
	s_waitcnt lgkmcnt(0)
	v_mad_u64_u32 v[0:1], null, s10, v116, 0
	v_mad_u64_u32 v[2:3], null, s8, v177, 0
	s_mul_i32 s10, s9, 0x50
	s_mul_i32 s14, s8, 0x50
	v_mad_u64_u32 v[32:33], null, s11, v116, v[1:2]
	s_mul_hi_u32 s11, s8, 0x50
	s_add_i32 s11, s11, s10
	v_mov_b32_e32 v1, v32
	v_or_b32_e32 v32, 0x50, v177
	v_lshlrev_b64 v[0:1], 4, v[0:1]
	v_mad_u64_u32 v[36:37], null, s8, v32, 0
	v_add_co_u32 v42, s0, s2, v0
	v_add_co_ci_u32_e64 v43, s0, s3, v1, s0
	v_mov_b32_e32 v1, v37
	s_waitcnt vmcnt(6)
	v_mad_u64_u32 v[33:34], null, s9, v177, v[3:4]
	v_mad_u64_u32 v[34:35], null, s8, v40, 0
	v_mov_b32_e32 v3, v33
	v_mov_b32_e32 v0, v35
	v_lshlrev_b64 v[2:3], 4, v[2:3]
	v_add_co_u32 v38, s0, v42, v2
	v_add_co_ci_u32_e64 v39, s0, v43, v3, s0
	v_mad_u64_u32 v[2:3], null, s9, v40, v[0:1]
	v_add_co_u32 v56, s0, v38, s14
	v_add_co_ci_u32_e64 v57, s0, s11, v39, s0
	v_add_co_u32 v68, s0, v56, s14
	v_add_co_ci_u32_e64 v69, s0, s11, v57, s0
	v_mad_u64_u32 v[0:1], null, s9, v32, v[1:2]
	v_add_co_u32 v80, s0, v68, s14
	v_add_co_ci_u32_e64 v81, s0, s11, v69, s0
	v_mov_b32_e32 v35, v2
	v_add_co_u32 v84, s0, v80, s14
	v_add_co_ci_u32_e64 v85, s0, s11, v81, s0
	v_mov_b32_e32 v37, v0
	v_add_co_u32 v88, s0, v84, s14
	v_add_co_ci_u32_e64 v89, s0, s11, v85, s0
	v_lshlrev_b64 v[40:41], 4, v[34:35]
	v_add_co_u32 v92, s0, v88, s14
	v_add_co_ci_u32_e64 v93, s0, s11, v89, s0
	v_lshlrev_b64 v[36:37], 4, v[36:37]
	v_add_co_u32 v96, s0, v92, s14
	v_add_co_ci_u32_e64 v97, s0, s11, v93, s0
	v_add_co_u32 v40, s0, v42, v40
	v_add_co_ci_u32_e64 v41, s0, v43, v41, s0
	v_mad_u64_u32 v[100:101], null, 0xa0, s8, v[96:97]
	v_add_co_u32 v52, s0, v42, v36
	v_add_co_ci_u32_e64 v53, s0, v43, v37, s0
	s_clause 0x1
	global_load_dwordx4 v[0:3], v255, s[6:7] offset:320
	global_load_dwordx4 v[32:35], v255, s[6:7] offset:400
	s_clause 0x1
	global_load_dwordx4 v[36:39], v[38:39], off
	global_load_dwordx4 v[40:43], v[40:41], off
	v_mov_b32_e32 v60, v101
	s_clause 0x1
	global_load_dwordx4 v[44:47], v255, s[6:7] offset:480
	global_load_dwordx4 v[48:51], v255, s[6:7] offset:560
	s_clause 0x1
	global_load_dwordx4 v[52:55], v[52:53], off
	global_load_dwordx4 v[56:59], v[56:57], off
	v_add_co_u32 v104, s0, v100, s14
	v_mad_u64_u32 v[94:95], null, 0xa0, s9, v[60:61]
	s_clause 0x1
	global_load_dwordx4 v[60:63], v255, s[6:7] offset:800
	global_load_dwordx4 v[64:67], v255, s[6:7] offset:880
	global_load_dwordx4 v[68:71], v[68:69], off
	s_clause 0x1
	global_load_dwordx4 v[72:75], v255, s[6:7] offset:960
	global_load_dwordx4 v[76:79], v255, s[6:7] offset:1040
	s_clause 0x1
	global_load_dwordx4 v[80:83], v[80:81], off
	global_load_dwordx4 v[84:87], v[84:85], off
	;; [unrolled: 1-line block ×4, first 2 shown]
	v_mov_b32_e32 v101, v94
	global_load_dwordx4 v[92:95], v[92:93], off
	v_add_co_ci_u32_e64 v105, s0, s11, v101, s0
	v_add_co_u32 v108, s0, v104, s14
	global_load_dwordx4 v[100:103], v[100:101], off
	v_add_co_ci_u32_e64 v109, s0, s11, v105, s0
	v_add_co_u32 v112, s0, v108, s14
	;; [unrolled: 3-line block ×5, first 2 shown]
	v_add_co_ci_u32_e64 v134, s0, s11, v122, s0
	global_load_dwordx4 v[117:120], v[117:118], off
	global_load_dwordx4 v[121:124], v[121:122], off
	s_clause 0x1
	global_load_dwordx4 v[125:128], v255, s[6:7] offset:1120
	global_load_dwordx4 v[129:132], v255, s[6:7] offset:1200
	global_load_dwordx4 v[133:136], v[133:134], off
	s_waitcnt vmcnt(24)
	v_mul_f64 v[137:138], v[38:39], v[10:11]
	v_mul_f64 v[10:11], v[36:37], v[10:11]
	s_waitcnt vmcnt(23)
	v_mul_f64 v[139:140], v[42:43], v[26:27]
	v_mul_f64 v[26:27], v[40:41], v[26:27]
	s_waitcnt vmcnt(20)
	v_mul_f64 v[141:142], v[54:55], v[6:7]
	v_mul_f64 v[151:152], v[52:53], v[6:7]
	s_waitcnt vmcnt(19)
	v_mul_f64 v[143:144], v[58:59], v[14:15]
	s_waitcnt vmcnt(13)
	v_mul_f64 v[147:148], v[82:83], v[22:23]
	;; [unrolled: 2-line block ×3, first 2 shown]
	v_mul_f64 v[155:156], v[84:85], v[2:3]
	v_mul_f64 v[149:150], v[80:81], v[22:23]
	;; [unrolled: 1-line block ×5, first 2 shown]
	v_fma_f64 v[6:7], v[36:37], v[8:9], v[137:138]
	v_fma_f64 v[8:9], v[38:39], v[8:9], -v[10:11]
	v_fma_f64 v[22:23], v[40:41], v[24:25], v[139:140]
	v_fma_f64 v[24:25], v[42:43], v[24:25], -v[26:27]
	s_waitcnt vmcnt(11)
	v_mul_f64 v[26:27], v[90:91], v[34:35]
	v_mul_f64 v[38:39], v[88:89], v[34:35]
	s_waitcnt vmcnt(9)
	v_mul_f64 v[40:41], v[94:95], v[46:47]
	v_mul_f64 v[42:43], v[92:93], v[46:47]
	v_fma_f64 v[34:35], v[84:85], v[0:1], v[153:154]
	v_fma_f64 v[36:37], v[86:87], v[0:1], -v[155:156]
	buffer_load_dword v1, off, s[56:59], 0 offset:4 ; 4-byte Folded Reload
	v_mul_f64 v[46:47], v[98:99], v[50:51]
	v_mul_f64 v[50:51], v[96:97], v[50:51]
	v_fma_f64 v[2:3], v[52:53], v[4:5], v[141:142]
	v_fma_f64 v[10:11], v[56:57], v[12:13], v[143:144]
	s_waitcnt vmcnt(9)
	v_mul_f64 v[52:53], v[102:103], v[30:31]
	v_mul_f64 v[56:57], v[100:101], v[30:31]
	v_fma_f64 v[12:13], v[58:59], v[12:13], -v[14:15]
	s_waitcnt vmcnt(8)
	v_mul_f64 v[58:59], v[106:107], v[62:63]
	v_mul_f64 v[62:63], v[104:105], v[62:63]
	v_fma_f64 v[14:15], v[68:69], v[16:17], v[145:146]
	s_waitcnt vmcnt(7)
	v_mul_f64 v[68:69], v[110:111], v[66:67]
	v_mul_f64 v[66:67], v[108:109], v[66:67]
	v_fma_f64 v[16:17], v[70:71], v[16:17], -v[18:19]
	s_waitcnt vmcnt(6)
	v_mul_f64 v[70:71], v[114:115], v[74:75]
	v_mul_f64 v[74:75], v[112:113], v[74:75]
	;; [unrolled: 8-line block ×3, first 2 shown]
	s_waitcnt vmcnt(1)
	v_mul_f64 v[137:138], v[135:136], v[131:132]
	v_mul_f64 v[131:132], v[133:134], v[131:132]
	v_fma_f64 v[30:31], v[88:89], v[32:33], v[26:27]
	v_fma_f64 v[32:33], v[90:91], v[32:33], -v[38:39]
	v_fma_f64 v[38:39], v[92:93], v[44:45], v[40:41]
	v_fma_f64 v[40:41], v[94:95], v[44:45], -v[42:43]
	;; [unrolled: 2-line block ×7, first 2 shown]
	v_fma_f64 v[4:5], v[54:55], v[4:5], -v[151:152]
	v_fma_f64 v[60:61], v[117:118], v[76:77], v[80:81]
	v_fma_f64 v[62:63], v[119:120], v[76:77], -v[78:79]
	v_fma_f64 v[64:65], v[121:122], v[125:126], v[82:83]
	;; [unrolled: 2-line block ×3, first 2 shown]
	v_fma_f64 v[70:71], v[135:136], v[129:130], -v[131:132]
	s_waitcnt vmcnt(0)
	v_lshl_add_u32 v0, v177, 4, v1
	v_add_nc_u32_e32 v1, v1, v255
	ds_write_b128 v0, v[6:9]
	ds_write_b128 v1, v[22:25] offset:640
	ds_write_b128 v1, v[10:13] offset:80
	;; [unrolled: 1-line block ×16, first 2 shown]
.LBB0_3:
	s_or_b32 exec_lo, exec_lo, s1
	s_clause 0x1
	s_load_dwordx2 s[0:1], s[4:5], 0x20
	s_load_dwordx2 s[4:5], s[4:5], 0x8
	s_waitcnt lgkmcnt(0)
	s_waitcnt_vscnt null, 0x0
	s_barrier
	buffer_gl0_inv
                                        ; implicit-def: $vgpr82_vgpr83
                                        ; implicit-def: $vgpr94_vgpr95
                                        ; implicit-def: $vgpr86_vgpr87
                                        ; implicit-def: $vgpr78_vgpr79
                                        ; implicit-def: $vgpr74_vgpr75
                                        ; implicit-def: $vgpr70_vgpr71
                                        ; implicit-def: $vgpr66_vgpr67
                                        ; implicit-def: $vgpr58_vgpr59
                                        ; implicit-def: $vgpr18_vgpr19
                                        ; implicit-def: $vgpr96_vgpr97
                                        ; implicit-def: $vgpr52_vgpr53
                                        ; implicit-def: $vgpr48_vgpr49
                                        ; implicit-def: $vgpr44_vgpr45
                                        ; implicit-def: $vgpr40_vgpr41
                                        ; implicit-def: $vgpr36_vgpr37
                                        ; implicit-def: $vgpr32_vgpr33
                                        ; implicit-def: $vgpr28_vgpr29
	s_and_saveexec_b32 s2, vcc_lo
	s_cbranch_execz .LBB0_5
; %bb.4:
	buffer_load_dword v0, off, s[56:59], 0  ; 4-byte Folded Reload
	s_waitcnt vmcnt(0)
	v_lshl_add_u32 v0, v0, 4, v255
	ds_read_b128 v[16:19], v0
	ds_read_b128 v[56:59], v0 offset:80
	ds_read_b128 v[64:67], v0 offset:160
	;; [unrolled: 1-line block ×16, first 2 shown]
.LBB0_5:
	s_or_b32 exec_lo, exec_lo, s2
	s_waitcnt lgkmcnt(0)
	v_add_f64 v[2:3], v[58:59], -v[30:31]
	s_mov_b32 s38, 0x5d8e7cdc
	s_mov_b32 s39, 0xbfd71e95
	v_add_f64 v[0:1], v[56:57], -v[28:29]
	v_add_f64 v[127:128], v[66:67], -v[34:35]
	s_mov_b32 s46, 0x2a9d6da3
	s_mov_b32 s34, 0x7c9e640b
	;; [unrolled: 1-line block ×6, first 2 shown]
	v_add_f64 v[125:126], v[64:65], -v[32:33]
	v_add_f64 v[121:122], v[56:57], v[28:29]
	s_mov_b32 s2, 0x370991
	s_mov_b32 s3, 0x3fedd6d0
	v_add_f64 v[123:124], v[58:59], v[30:31]
	v_add_f64 v[117:118], v[64:65], v[32:33]
	s_mov_b32 s8, 0x75d4884
	s_mov_b32 s9, 0x3fe7a5f6
	v_add_f64 v[119:120], v[66:67], v[34:35]
	s_mov_b32 s18, 0x3259b75e
	s_mov_b32 s19, 0x3fb79ee6
	v_mul_f64 v[4:5], v[2:3], s[38:39]
	v_mul_f64 v[8:9], v[2:3], s[46:47]
	;; [unrolled: 1-line block ×9, first 2 shown]
	s_mov_b32 s26, 0x6c9a05f6
	s_mov_b32 s27, 0xbfe9895b
	v_mul_f64 v[131:132], v[125:126], s[46:47]
	s_mov_b32 s10, 0x2b2883cd
	s_mov_b32 s11, 0x3fdc86fa
	;; [unrolled: 1-line block ×10, first 2 shown]
	buffer_store_dword v4, off, s[56:59], 0 offset:16 ; 4-byte Folded Spill
	buffer_store_dword v5, off, s[56:59], 0 offset:20 ; 4-byte Folded Spill
	buffer_store_dword v6, off, s[56:59], 0 offset:24 ; 4-byte Folded Spill
	buffer_store_dword v7, off, s[56:59], 0 offset:28 ; 4-byte Folded Spill
	buffer_store_dword v8, off, s[56:59], 0 offset:32 ; 4-byte Folded Spill
	buffer_store_dword v9, off, s[56:59], 0 offset:36 ; 4-byte Folded Spill
	buffer_store_dword v10, off, s[56:59], 0 offset:40 ; 4-byte Folded Spill
	buffer_store_dword v11, off, s[56:59], 0 offset:44 ; 4-byte Folded Spill
	buffer_store_dword v12, off, s[56:59], 0 offset:48 ; 4-byte Folded Spill
	buffer_store_dword v13, off, s[56:59], 0 offset:52 ; 4-byte Folded Spill
	buffer_store_dword v14, off, s[56:59], 0 offset:56 ; 4-byte Folded Spill
	buffer_store_dword v15, off, s[56:59], 0 offset:60 ; 4-byte Folded Spill
	buffer_store_dword v20, off, s[56:59], 0 offset:64 ; 4-byte Folded Spill
	buffer_store_dword v21, off, s[56:59], 0 offset:68 ; 4-byte Folded Spill
	buffer_store_dword v22, off, s[56:59], 0 offset:72 ; 4-byte Folded Spill
	buffer_store_dword v23, off, s[56:59], 0 offset:76 ; 4-byte Folded Spill
	buffer_store_dword v129, off, s[56:59], 0 offset:128 ; 4-byte Folded Spill
	buffer_store_dword v130, off, s[56:59], 0 offset:132 ; 4-byte Folded Spill
	buffer_store_dword v131, off, s[56:59], 0 offset:136 ; 4-byte Folded Spill
	buffer_store_dword v132, off, s[56:59], 0 offset:140 ; 4-byte Folded Spill
	v_mul_f64 v[24:25], v[2:3], s[24:25]
	s_mov_b32 s16, 0xc61f0d01
	s_mov_b32 s30, 0x4363dd80
	;; [unrolled: 1-line block ×8, first 2 shown]
	v_mul_f64 v[60:61], v[0:1], s[24:25]
	v_mul_f64 v[88:89], v[2:3], s[26:27]
	s_mov_b32 s49, 0x3feec746
	s_mov_b32 s48, s24
	v_mul_f64 v[100:101], v[0:1], s[26:27]
	v_mul_f64 v[104:105], v[2:3], s[30:31]
	s_mov_b32 s29, 0x3feca52d
	s_mov_b32 s28, s34
	;; [unrolled: 4-line block ×3, first 2 shown]
	v_mul_f64 v[0:1], v[0:1], s[36:37]
	v_fma_f64 v[26:27], v[121:122], s[16:17], -v[24:25]
	v_fma_f64 v[24:25], v[121:122], s[16:17], v[24:25]
	v_add_f64 v[149:150], v[68:69], v[36:37]
	v_add_f64 v[151:152], v[70:71], v[38:39]
	s_mov_b32 s43, 0x3fc7851a
	s_mov_b32 s42, s36
	v_add_f64 v[169:170], v[72:73], v[40:41]
	v_add_f64 v[171:172], v[74:75], v[42:43]
	s_mov_b32 s53, 0x3fe9895b
	v_fma_f64 v[62:63], v[123:124], s[16:17], v[60:61]
	v_fma_f64 v[60:61], v[123:124], s[16:17], -v[60:61]
	v_fma_f64 v[90:91], v[121:122], s[14:15], -v[88:89]
	v_fma_f64 v[88:89], v[121:122], s[14:15], v[88:89]
	v_fma_f64 v[102:103], v[123:124], s[14:15], v[100:101]
	v_fma_f64 v[100:101], v[123:124], s[14:15], -v[100:101]
	v_fma_f64 v[106:107], v[121:122], s[20:21], -v[104:105]
	v_fma_f64 v[104:105], v[121:122], s[20:21], v[104:105]
	;; [unrolled: 4-line block ×3, first 2 shown]
	v_fma_f64 v[114:115], v[123:124], s[22:23], v[0:1]
	v_add_f64 v[26:27], v[16:17], v[26:27]
	v_add_f64 v[24:25], v[16:17], v[24:25]
	v_fma_f64 v[0:1], v[123:124], s[22:23], -v[0:1]
	s_mov_b32 s52, s26
	v_add_f64 v[189:190], v[76:77], v[44:45]
	v_add_f64 v[191:192], v[78:79], v[46:47]
	;; [unrolled: 1-line block ×19, first 2 shown]
	v_add_f64 v[153:154], v[82:83], -v[98:99]
	v_add_f64 v[0:1], v[18:19], v[0:1]
	v_add_f64 v[247:248], v[80:81], v[96:97]
	v_add_f64 v[147:148], v[80:81], -v[96:97]
	v_add_f64 v[251:252], v[82:83], v[98:99]
	v_mul_lo_u16 v178, v177, 17
	v_mul_f64 v[137:138], v[147:148], s[44:45]
	v_fma_f64 v[4:5], v[121:122], s[2:3], v[4:5]
	v_fma_f64 v[6:7], v[123:124], s[2:3], -v[6:7]
	v_fma_f64 v[8:9], v[121:122], s[8:9], v[8:9]
	v_fma_f64 v[10:11], v[123:124], s[8:9], -v[10:11]
	v_fma_f64 v[12:13], v[121:122], s[10:11], v[12:13]
	v_fma_f64 v[14:15], v[123:124], s[10:11], -v[14:15]
	v_fma_f64 v[20:21], v[121:122], s[18:19], v[20:21]
	v_fma_f64 v[22:23], v[123:124], s[18:19], -v[22:23]
	v_fma_f64 v[129:130], v[117:118], s[8:9], v[129:130]
	v_add_f64 v[4:5], v[16:17], v[4:5]
	v_add_f64 v[6:7], v[18:19], v[6:7]
	;; [unrolled: 1-line block ×9, first 2 shown]
	v_fma_f64 v[129:130], v[119:120], s[8:9], -v[131:132]
	v_mul_f64 v[131:132], v[125:126], s[40:41]
	v_add_f64 v[6:7], v[129:130], v[6:7]
	v_mul_f64 v[129:130], v[127:128], s[40:41]
	buffer_store_dword v129, off, s[56:59], 0 offset:112 ; 4-byte Folded Spill
	buffer_store_dword v130, off, s[56:59], 0 offset:116 ; 4-byte Folded Spill
	buffer_store_dword v131, off, s[56:59], 0 offset:120 ; 4-byte Folded Spill
	buffer_store_dword v132, off, s[56:59], 0 offset:124 ; 4-byte Folded Spill
	v_fma_f64 v[129:130], v[117:118], s[18:19], v[129:130]
	v_add_f64 v[8:9], v[129:130], v[8:9]
	v_fma_f64 v[129:130], v[119:120], s[18:19], -v[131:132]
	v_mul_f64 v[131:132], v[125:126], s[26:27]
	v_add_f64 v[10:11], v[129:130], v[10:11]
	v_mul_f64 v[129:130], v[127:128], s[26:27]
	buffer_store_dword v129, off, s[56:59], 0 offset:96 ; 4-byte Folded Spill
	buffer_store_dword v130, off, s[56:59], 0 offset:100 ; 4-byte Folded Spill
	buffer_store_dword v131, off, s[56:59], 0 offset:104 ; 4-byte Folded Spill
	buffer_store_dword v132, off, s[56:59], 0 offset:108 ; 4-byte Folded Spill
	v_fma_f64 v[129:130], v[117:118], s[14:15], v[129:130]
	v_add_f64 v[12:13], v[129:130], v[12:13]
	;; [unrolled: 10-line block ×3, first 2 shown]
	v_fma_f64 v[129:130], v[119:120], s[22:23], -v[131:132]
	v_add_f64 v[22:23], v[129:130], v[22:23]
	v_mul_f64 v[129:130], v[127:128], s[50:51]
	v_fma_f64 v[131:132], v[117:118], s[20:21], -v[129:130]
	v_fma_f64 v[129:130], v[117:118], s[20:21], v[129:130]
	v_add_f64 v[26:27], v[131:132], v[26:27]
	v_mul_f64 v[131:132], v[125:126], s[50:51]
	v_add_f64 v[24:25], v[129:130], v[24:25]
	v_fma_f64 v[129:130], v[119:120], s[20:21], -v[131:132]
	v_fma_f64 v[133:134], v[119:120], s[20:21], v[131:132]
	v_add_f64 v[60:61], v[129:130], v[60:61]
	v_mul_f64 v[129:130], v[127:128], s[48:49]
	v_add_f64 v[62:63], v[133:134], v[62:63]
	;; [unrolled: 5-line block ×3, first 2 shown]
	v_fma_f64 v[129:130], v[119:120], s[16:17], -v[131:132]
	v_fma_f64 v[133:134], v[119:120], s[16:17], v[131:132]
	v_add_f64 v[100:101], v[129:130], v[100:101]
	v_mul_f64 v[129:130], v[127:128], s[28:29]
	v_mul_f64 v[127:128], v[127:128], s[44:45]
	v_add_f64 v[102:103], v[133:134], v[102:103]
	v_fma_f64 v[131:132], v[117:118], s[10:11], -v[129:130]
	v_fma_f64 v[129:130], v[117:118], s[10:11], v[129:130]
	v_add_f64 v[106:107], v[131:132], v[106:107]
	v_mul_f64 v[131:132], v[125:126], s[28:29]
	v_add_f64 v[104:105], v[129:130], v[104:105]
	v_mul_f64 v[125:126], v[125:126], s[44:45]
	v_fma_f64 v[129:130], v[119:120], s[10:11], -v[131:132]
	v_fma_f64 v[133:134], v[119:120], s[10:11], v[131:132]
	v_add_f64 v[108:109], v[129:130], v[108:109]
	v_fma_f64 v[129:130], v[117:118], s[2:3], -v[127:128]
	v_fma_f64 v[127:128], v[117:118], s[2:3], v[127:128]
	v_add_f64 v[110:111], v[133:134], v[110:111]
	v_add_f64 v[112:113], v[129:130], v[112:113]
	v_fma_f64 v[129:130], v[119:120], s[2:3], v[125:126]
	v_add_f64 v[2:3], v[127:128], v[2:3]
	v_fma_f64 v[125:126], v[119:120], s[2:3], -v[125:126]
	v_add_f64 v[127:128], v[70:71], -v[38:39]
	v_add_f64 v[114:115], v[129:130], v[114:115]
	v_add_f64 v[0:1], v[125:126], v[0:1]
	v_add_f64 v[125:126], v[68:69], -v[36:37]
	v_mul_f64 v[155:156], v[127:128], s[34:35]
	v_mul_f64 v[173:174], v[127:128], s[26:27]
	;; [unrolled: 1-line block ×4, first 2 shown]
	v_fma_f64 v[129:130], v[149:150], s[10:11], v[155:156]
	v_mul_f64 v[175:176], v[125:126], s[26:27]
	v_mul_f64 v[167:168], v[125:126], s[42:43]
	;; [unrolled: 1-line block ×3, first 2 shown]
	s_mov_b32 s43, 0x3fe58eea
	s_mov_b32 s42, s46
	v_mul_f64 v[145:146], v[147:148], s[42:43]
	v_add_f64 v[4:5], v[129:130], v[4:5]
	v_fma_f64 v[129:130], v[151:152], s[10:11], -v[179:180]
	v_add_f64 v[6:7], v[129:130], v[6:7]
	v_fma_f64 v[129:130], v[149:150], s[14:15], v[173:174]
	v_add_f64 v[8:9], v[129:130], v[8:9]
	v_fma_f64 v[129:130], v[151:152], s[14:15], -v[175:176]
	v_add_f64 v[10:11], v[129:130], v[10:11]
	v_fma_f64 v[129:130], v[149:150], s[22:23], v[165:166]
	v_add_f64 v[12:13], v[129:130], v[12:13]
	v_fma_f64 v[129:130], v[151:152], s[22:23], -v[167:168]
	v_add_f64 v[14:15], v[129:130], v[14:15]
	v_mul_f64 v[129:130], v[127:128], s[48:49]
	buffer_store_dword v129, off, s[56:59], 0 offset:144 ; 4-byte Folded Spill
	buffer_store_dword v130, off, s[56:59], 0 offset:148 ; 4-byte Folded Spill
	s_waitcnt_vscnt null, 0x0
	s_barrier
	buffer_gl0_inv
	v_fma_f64 v[129:130], v[149:150], s[16:17], v[129:130]
	v_add_f64 v[20:21], v[129:130], v[20:21]
	v_fma_f64 v[129:130], v[151:152], s[16:17], -v[163:164]
	v_add_f64 v[22:23], v[129:130], v[22:23]
	v_mul_f64 v[129:130], v[127:128], s[42:43]
	v_fma_f64 v[131:132], v[149:150], s[8:9], -v[129:130]
	v_fma_f64 v[129:130], v[149:150], s[8:9], v[129:130]
	v_add_f64 v[26:27], v[131:132], v[26:27]
	v_mul_f64 v[131:132], v[125:126], s[42:43]
	v_add_f64 v[24:25], v[129:130], v[24:25]
	v_fma_f64 v[129:130], v[151:152], s[8:9], -v[131:132]
	v_fma_f64 v[133:134], v[151:152], s[8:9], v[131:132]
	v_add_f64 v[60:61], v[129:130], v[60:61]
	v_mul_f64 v[129:130], v[127:128], s[38:39]
	v_add_f64 v[62:63], v[133:134], v[62:63]
	;; [unrolled: 5-line block ×3, first 2 shown]
	v_fma_f64 v[129:130], v[151:152], s[2:3], -v[131:132]
	v_fma_f64 v[133:134], v[151:152], s[2:3], v[131:132]
	v_add_f64 v[100:101], v[129:130], v[100:101]
	v_mul_f64 v[129:130], v[127:128], s[40:41]
	v_mul_f64 v[127:128], v[127:128], s[30:31]
	v_add_f64 v[102:103], v[133:134], v[102:103]
	v_fma_f64 v[131:132], v[149:150], s[18:19], -v[129:130]
	v_fma_f64 v[129:130], v[149:150], s[18:19], v[129:130]
	v_add_f64 v[106:107], v[131:132], v[106:107]
	v_mul_f64 v[131:132], v[125:126], s[40:41]
	v_add_f64 v[104:105], v[129:130], v[104:105]
	v_mul_f64 v[125:126], v[125:126], s[30:31]
	v_fma_f64 v[129:130], v[151:152], s[18:19], -v[131:132]
	v_fma_f64 v[133:134], v[151:152], s[18:19], v[131:132]
	v_add_f64 v[108:109], v[129:130], v[108:109]
	v_fma_f64 v[129:130], v[149:150], s[20:21], -v[127:128]
	v_fma_f64 v[127:128], v[149:150], s[20:21], v[127:128]
	v_add_f64 v[110:111], v[133:134], v[110:111]
	v_add_f64 v[112:113], v[129:130], v[112:113]
	v_fma_f64 v[129:130], v[151:152], s[20:21], v[125:126]
	v_add_f64 v[2:3], v[127:128], v[2:3]
	v_fma_f64 v[125:126], v[151:152], s[20:21], -v[125:126]
	v_add_f64 v[127:128], v[74:75], -v[42:43]
	v_add_f64 v[114:115], v[129:130], v[114:115]
	v_add_f64 v[0:1], v[125:126], v[0:1]
	v_add_f64 v[125:126], v[72:73], -v[40:41]
	v_mul_f64 v[197:198], v[127:128], s[40:41]
	v_mul_f64 v[193:194], v[127:128], s[36:37]
	;; [unrolled: 1-line block ×5, first 2 shown]
	v_fma_f64 v[129:130], v[169:170], s[18:19], v[197:198]
	v_mul_f64 v[195:196], v[125:126], s[36:37]
	v_mul_f64 v[187:188], v[125:126], s[48:49]
	;; [unrolled: 1-line block ×3, first 2 shown]
	v_add_f64 v[4:5], v[129:130], v[4:5]
	v_fma_f64 v[129:130], v[171:172], s[18:19], -v[199:200]
	v_add_f64 v[6:7], v[129:130], v[6:7]
	v_fma_f64 v[129:130], v[169:170], s[22:23], v[193:194]
	v_add_f64 v[8:9], v[129:130], v[8:9]
	v_fma_f64 v[129:130], v[171:172], s[22:23], -v[195:196]
	v_add_f64 v[10:11], v[129:130], v[10:11]
	v_fma_f64 v[129:130], v[169:170], s[16:17], v[185:186]
	;; [unrolled: 4-line block ×3, first 2 shown]
	v_add_f64 v[20:21], v[129:130], v[20:21]
	v_fma_f64 v[129:130], v[171:172], s[2:3], -v[183:184]
	v_add_f64 v[22:23], v[129:130], v[22:23]
	v_mul_f64 v[129:130], v[127:128], s[34:35]
	v_fma_f64 v[131:132], v[169:170], s[10:11], -v[129:130]
	v_fma_f64 v[129:130], v[169:170], s[10:11], v[129:130]
	v_add_f64 v[26:27], v[131:132], v[26:27]
	v_mul_f64 v[131:132], v[125:126], s[34:35]
	v_add_f64 v[24:25], v[129:130], v[24:25]
	v_fma_f64 v[129:130], v[171:172], s[10:11], -v[131:132]
	v_fma_f64 v[133:134], v[171:172], s[10:11], v[131:132]
	v_add_f64 v[60:61], v[129:130], v[60:61]
	v_mul_f64 v[129:130], v[127:128], s[30:31]
	v_add_f64 v[62:63], v[133:134], v[62:63]
	;; [unrolled: 5-line block ×3, first 2 shown]
	v_fma_f64 v[129:130], v[171:172], s[20:21], -v[131:132]
	v_fma_f64 v[133:134], v[171:172], s[20:21], v[131:132]
	v_add_f64 v[100:101], v[129:130], v[100:101]
	v_mul_f64 v[129:130], v[127:128], s[52:53]
	v_mul_f64 v[127:128], v[127:128], s[42:43]
	v_add_f64 v[102:103], v[133:134], v[102:103]
	v_fma_f64 v[131:132], v[169:170], s[14:15], -v[129:130]
	v_fma_f64 v[129:130], v[169:170], s[14:15], v[129:130]
	v_add_f64 v[106:107], v[131:132], v[106:107]
	v_mul_f64 v[131:132], v[125:126], s[52:53]
	v_add_f64 v[104:105], v[129:130], v[104:105]
	v_mul_f64 v[125:126], v[125:126], s[42:43]
	v_fma_f64 v[129:130], v[171:172], s[14:15], -v[131:132]
	v_fma_f64 v[133:134], v[171:172], s[14:15], v[131:132]
	v_add_f64 v[108:109], v[129:130], v[108:109]
	v_fma_f64 v[129:130], v[169:170], s[8:9], -v[127:128]
	v_fma_f64 v[127:128], v[169:170], s[8:9], v[127:128]
	v_add_f64 v[110:111], v[133:134], v[110:111]
	v_add_f64 v[112:113], v[129:130], v[112:113]
	v_fma_f64 v[129:130], v[171:172], s[8:9], v[125:126]
	v_add_f64 v[2:3], v[127:128], v[2:3]
	v_fma_f64 v[125:126], v[171:172], s[8:9], -v[125:126]
	v_add_f64 v[127:128], v[78:79], -v[46:47]
	v_add_f64 v[114:115], v[129:130], v[114:115]
	v_add_f64 v[0:1], v[125:126], v[0:1]
	v_add_f64 v[125:126], v[76:77], -v[44:45]
	v_mul_f64 v[217:218], v[127:128], s[24:25]
	v_mul_f64 v[213:214], v[127:128], s[50:51]
	;; [unrolled: 1-line block ×5, first 2 shown]
	v_fma_f64 v[129:130], v[189:190], s[16:17], v[217:218]
	v_mul_f64 v[215:216], v[125:126], s[50:51]
	v_mul_f64 v[207:208], v[125:126], s[42:43]
	;; [unrolled: 1-line block ×3, first 2 shown]
	s_mov_b32 s35, 0x3fefdd0d
	s_mov_b32 s34, s40
	v_add_f64 v[4:5], v[129:130], v[4:5]
	v_fma_f64 v[129:130], v[191:192], s[16:17], -v[219:220]
	v_add_f64 v[6:7], v[129:130], v[6:7]
	v_fma_f64 v[129:130], v[189:190], s[20:21], v[213:214]
	v_add_f64 v[8:9], v[129:130], v[8:9]
	v_fma_f64 v[129:130], v[191:192], s[20:21], -v[215:216]
	v_add_f64 v[10:11], v[129:130], v[10:11]
	v_fma_f64 v[129:130], v[189:190], s[8:9], v[205:206]
	;; [unrolled: 4-line block ×3, first 2 shown]
	v_add_f64 v[20:21], v[129:130], v[20:21]
	v_fma_f64 v[129:130], v[191:192], s[10:11], -v[203:204]
	v_add_f64 v[22:23], v[129:130], v[22:23]
	v_mul_f64 v[129:130], v[127:128], s[36:37]
	v_fma_f64 v[131:132], v[189:190], s[22:23], -v[129:130]
	v_fma_f64 v[129:130], v[189:190], s[22:23], v[129:130]
	v_add_f64 v[26:27], v[131:132], v[26:27]
	v_mul_f64 v[131:132], v[125:126], s[36:37]
	v_add_f64 v[24:25], v[129:130], v[24:25]
	v_fma_f64 v[129:130], v[191:192], s[22:23], -v[131:132]
	v_fma_f64 v[133:134], v[191:192], s[22:23], v[131:132]
	v_add_f64 v[60:61], v[129:130], v[60:61]
	v_mul_f64 v[129:130], v[127:128], s[34:35]
	v_add_f64 v[62:63], v[133:134], v[62:63]
	;; [unrolled: 5-line block ×3, first 2 shown]
	v_fma_f64 v[129:130], v[191:192], s[18:19], -v[131:132]
	v_fma_f64 v[133:134], v[191:192], s[18:19], v[131:132]
	v_add_f64 v[100:101], v[129:130], v[100:101]
	v_mul_f64 v[129:130], v[127:128], s[38:39]
	v_mul_f64 v[127:128], v[127:128], s[26:27]
	v_add_f64 v[102:103], v[133:134], v[102:103]
	v_fma_f64 v[131:132], v[189:190], s[2:3], -v[129:130]
	v_fma_f64 v[129:130], v[189:190], s[2:3], v[129:130]
	v_add_f64 v[106:107], v[131:132], v[106:107]
	v_mul_f64 v[131:132], v[125:126], s[38:39]
	v_add_f64 v[104:105], v[129:130], v[104:105]
	v_mul_f64 v[125:126], v[125:126], s[26:27]
	v_fma_f64 v[129:130], v[191:192], s[2:3], -v[131:132]
	v_fma_f64 v[133:134], v[191:192], s[2:3], v[131:132]
	v_add_f64 v[108:109], v[129:130], v[108:109]
	v_fma_f64 v[129:130], v[189:190], s[14:15], -v[127:128]
	v_fma_f64 v[127:128], v[189:190], s[14:15], v[127:128]
	v_add_f64 v[110:111], v[133:134], v[110:111]
	v_add_f64 v[112:113], v[129:130], v[112:113]
	v_fma_f64 v[129:130], v[191:192], s[14:15], v[125:126]
	v_add_f64 v[2:3], v[127:128], v[2:3]
	v_fma_f64 v[125:126], v[191:192], s[14:15], -v[125:126]
	v_add_f64 v[127:128], v[86:87], -v[50:51]
	v_add_f64 v[114:115], v[129:130], v[114:115]
	v_add_f64 v[0:1], v[125:126], v[0:1]
	v_add_f64 v[125:126], v[84:85], -v[48:49]
	v_mul_f64 v[237:238], v[127:128], s[26:27]
	v_mul_f64 v[233:234], v[127:128], s[48:49]
	;; [unrolled: 1-line block ×5, first 2 shown]
	v_fma_f64 v[129:130], v[209:210], s[14:15], v[237:238]
	v_mul_f64 v[235:236], v[125:126], s[48:49]
	v_mul_f64 v[229:230], v[125:126], s[38:39]
	;; [unrolled: 1-line block ×3, first 2 shown]
	v_add_f64 v[4:5], v[129:130], v[4:5]
	v_fma_f64 v[129:130], v[211:212], s[14:15], -v[239:240]
	v_add_f64 v[6:7], v[129:130], v[6:7]
	v_fma_f64 v[129:130], v[209:210], s[16:17], v[233:234]
	v_add_f64 v[8:9], v[129:130], v[8:9]
	v_fma_f64 v[129:130], v[211:212], s[16:17], -v[235:236]
	v_add_f64 v[10:11], v[129:130], v[10:11]
	v_fma_f64 v[129:130], v[209:210], s[2:3], v[225:226]
	;; [unrolled: 4-line block ×3, first 2 shown]
	v_add_f64 v[20:21], v[129:130], v[20:21]
	v_fma_f64 v[129:130], v[211:212], s[20:21], -v[223:224]
	v_add_f64 v[22:23], v[129:130], v[22:23]
	v_mul_f64 v[129:130], v[127:128], s[34:35]
	v_fma_f64 v[131:132], v[209:210], s[18:19], -v[129:130]
	v_fma_f64 v[129:130], v[209:210], s[18:19], v[129:130]
	v_add_f64 v[26:27], v[131:132], v[26:27]
	v_mul_f64 v[131:132], v[125:126], s[34:35]
	v_add_f64 v[24:25], v[129:130], v[24:25]
	v_fma_f64 v[129:130], v[211:212], s[18:19], -v[131:132]
	v_fma_f64 v[133:134], v[211:212], s[18:19], v[131:132]
	v_add_f64 v[60:61], v[129:130], v[60:61]
	v_mul_f64 v[129:130], v[127:128], s[46:47]
	v_add_f64 v[62:63], v[133:134], v[62:63]
	;; [unrolled: 5-line block ×4, first 2 shown]
	v_mul_f64 v[127:128], v[127:128], s[28:29]
	v_fma_f64 v[131:132], v[209:210], s[22:23], -v[129:130]
	v_fma_f64 v[129:130], v[209:210], s[22:23], v[129:130]
	v_add_f64 v[106:107], v[131:132], v[106:107]
	v_mul_f64 v[131:132], v[125:126], s[36:37]
	v_add_f64 v[104:105], v[129:130], v[104:105]
	v_mul_f64 v[125:126], v[125:126], s[28:29]
	v_fma_f64 v[133:134], v[211:212], s[22:23], v[131:132]
	v_fma_f64 v[129:130], v[211:212], s[22:23], -v[131:132]
	v_add_f64 v[131:132], v[92:93], -v[52:53]
	v_add_f64 v[110:111], v[133:134], v[110:111]
	v_add_f64 v[108:109], v[129:130], v[108:109]
	v_fma_f64 v[129:130], v[209:210], s[10:11], -v[127:128]
	v_fma_f64 v[127:128], v[209:210], s[10:11], v[127:128]
	v_add_f64 v[133:134], v[94:95], -v[54:55]
	v_mul_f64 v[249:250], v[131:132], s[40:41]
	v_mul_f64 v[243:244], v[131:132], s[52:53]
	v_add_f64 v[112:113], v[129:130], v[112:113]
	v_fma_f64 v[129:130], v[211:212], s[10:11], v[125:126]
	v_add_f64 v[2:3], v[127:128], v[2:3]
	v_fma_f64 v[125:126], v[211:212], s[10:11], -v[125:126]
	v_mul_f64 v[127:128], v[133:134], s[30:31]
	v_mul_f64 v[253:254], v[133:134], s[28:29]
	;; [unrolled: 1-line block ×4, first 2 shown]
	v_add_f64 v[114:115], v[129:130], v[114:115]
	v_mul_f64 v[129:130], v[131:132], s[30:31]
	v_add_f64 v[0:1], v[125:126], v[0:1]
	v_fma_f64 v[125:126], v[227:228], s[20:21], v[127:128]
	v_fma_f64 v[135:136], v[227:228], s[10:11], v[253:254]
	v_add_f64 v[4:5], v[125:126], v[4:5]
	v_fma_f64 v[125:126], v[231:232], s[20:21], -v[129:130]
	v_add_f64 v[139:140], v[135:136], v[8:9]
	v_mul_f64 v[135:136], v[133:134], s[38:39]
	v_add_f64 v[6:7], v[125:126], v[6:7]
	v_mul_f64 v[125:126], v[131:132], s[28:29]
	v_fma_f64 v[8:9], v[231:232], s[10:11], -v[125:126]
	v_add_f64 v[141:142], v[8:9], v[10:11]
	v_fma_f64 v[8:9], v[227:228], s[18:19], v[245:246]
	v_fma_f64 v[10:11], v[231:232], s[18:19], -v[249:250]
	v_add_f64 v[8:9], v[8:9], v[12:13]
	v_fma_f64 v[12:13], v[227:228], s[14:15], v[241:242]
	v_add_f64 v[10:11], v[10:11], v[14:15]
	v_fma_f64 v[14:15], v[231:232], s[14:15], -v[243:244]
	v_add_f64 v[12:13], v[12:13], v[20:21]
	v_fma_f64 v[20:21], v[227:228], s[2:3], -v[135:136]
	v_add_f64 v[14:15], v[14:15], v[22:23]
	v_add_f64 v[20:21], v[20:21], v[26:27]
	v_mul_f64 v[26:27], v[131:132], s[38:39]
	v_fma_f64 v[22:23], v[231:232], s[2:3], v[26:27]
	v_fma_f64 v[26:27], v[231:232], s[2:3], -v[26:27]
	v_add_f64 v[22:23], v[22:23], v[62:63]
	v_fma_f64 v[62:63], v[227:228], s[2:3], v[135:136]
	v_mul_f64 v[135:136], v[133:134], s[36:37]
	v_add_f64 v[26:27], v[26:27], v[60:61]
	v_add_f64 v[24:25], v[62:63], v[24:25]
	v_fma_f64 v[60:61], v[227:228], s[22:23], -v[135:136]
	v_add_f64 v[60:61], v[60:61], v[90:91]
	v_mul_f64 v[90:91], v[131:132], s[36:37]
	v_fma_f64 v[62:63], v[231:232], s[22:23], v[90:91]
	v_fma_f64 v[90:91], v[231:232], s[22:23], -v[90:91]
	v_add_f64 v[62:63], v[62:63], v[102:103]
	v_fma_f64 v[102:103], v[227:228], s[22:23], v[135:136]
	v_mul_f64 v[135:136], v[133:134], s[42:43]
	v_add_f64 v[90:91], v[90:91], v[100:101]
	v_mul_f64 v[133:134], v[133:134], s[24:25]
	v_add_f64 v[88:89], v[102:103], v[88:89]
	v_fma_f64 v[100:101], v[227:228], s[8:9], -v[135:136]
	v_add_f64 v[100:101], v[100:101], v[106:107]
	v_mul_f64 v[106:107], v[131:132], s[42:43]
	v_mul_f64 v[131:132], v[131:132], s[24:25]
	v_fma_f64 v[102:103], v[231:232], s[8:9], v[106:107]
	v_fma_f64 v[106:107], v[231:232], s[8:9], -v[106:107]
	v_add_f64 v[102:103], v[102:103], v[110:111]
	v_add_f64 v[106:107], v[106:107], v[108:109]
	v_fma_f64 v[108:109], v[227:228], s[16:17], -v[133:134]
	v_fma_f64 v[110:111], v[227:228], s[8:9], v[135:136]
	v_mul_f64 v[135:136], v[153:154], s[44:45]
	v_add_f64 v[108:109], v[108:109], v[112:113]
	v_fma_f64 v[112:113], v[227:228], s[16:17], v[133:134]
	v_add_f64 v[104:105], v[110:111], v[104:105]
	v_fma_f64 v[110:111], v[231:232], s[16:17], v[131:132]
	v_mul_f64 v[133:134], v[147:148], s[36:37]
	v_add_f64 v[112:113], v[112:113], v[2:3]
	v_fma_f64 v[2:3], v[231:232], s[16:17], -v[131:132]
	v_mul_f64 v[131:132], v[153:154], s[36:37]
	v_add_f64 v[110:111], v[110:111], v[114:115]
	v_add_f64 v[114:115], v[2:3], v[0:1]
	v_fma_f64 v[0:1], v[247:248], s[22:23], v[131:132]
	v_fma_f64 v[2:3], v[251:252], s[22:23], -v[133:134]
	v_add_f64 v[0:1], v[0:1], v[4:5]
	v_fma_f64 v[4:5], v[247:248], s[2:3], v[135:136]
	v_add_f64 v[2:3], v[2:3], v[6:7]
	v_fma_f64 v[6:7], v[251:252], s[2:3], -v[137:138]
	v_add_f64 v[4:5], v[4:5], v[139:140]
	v_mul_f64 v[139:140], v[153:154], s[30:31]
	v_add_f64 v[6:7], v[6:7], v[141:142]
	v_mul_f64 v[141:142], v[147:148], s[30:31]
	v_fma_f64 v[143:144], v[247:248], s[20:21], v[139:140]
	v_add_f64 v[8:9], v[143:144], v[8:9]
	v_fma_f64 v[143:144], v[251:252], s[20:21], -v[141:142]
	v_add_f64 v[10:11], v[143:144], v[10:11]
	v_mul_f64 v[143:144], v[153:154], s[42:43]
	v_fma_f64 v[157:158], v[247:248], s[8:9], v[143:144]
	v_add_f64 v[12:13], v[157:158], v[12:13]
	v_fma_f64 v[157:158], v[251:252], s[8:9], -v[145:146]
	v_add_f64 v[14:15], v[157:158], v[14:15]
	v_mul_f64 v[157:158], v[153:154], s[26:27]
	v_fma_f64 v[159:160], v[247:248], s[14:15], -v[157:158]
	v_fma_f64 v[157:158], v[247:248], s[14:15], v[157:158]
	v_add_f64 v[20:21], v[159:160], v[20:21]
	v_mul_f64 v[159:160], v[147:148], s[26:27]
	v_add_f64 v[24:25], v[157:158], v[24:25]
	v_fma_f64 v[157:158], v[251:252], s[14:15], -v[159:160]
	v_fma_f64 v[161:162], v[251:252], s[14:15], v[159:160]
	v_add_f64 v[26:27], v[157:158], v[26:27]
	v_mul_f64 v[157:158], v[153:154], s[28:29]
	v_add_f64 v[22:23], v[161:162], v[22:23]
	v_fma_f64 v[159:160], v[247:248], s[10:11], -v[157:158]
	v_fma_f64 v[157:158], v[247:248], s[10:11], v[157:158]
	v_add_f64 v[60:61], v[159:160], v[60:61]
	v_mul_f64 v[159:160], v[147:148], s[28:29]
	v_add_f64 v[88:89], v[157:158], v[88:89]
	v_fma_f64 v[157:158], v[251:252], s[10:11], -v[159:160]
	v_fma_f64 v[161:162], v[251:252], s[10:11], v[159:160]
	v_add_f64 v[90:91], v[157:158], v[90:91]
	v_mul_f64 v[157:158], v[153:154], s[24:25]
	v_mul_f64 v[153:154], v[153:154], s[34:35]
	v_add_f64 v[62:63], v[161:162], v[62:63]
	v_fma_f64 v[159:160], v[247:248], s[16:17], -v[157:158]
	v_fma_f64 v[157:158], v[247:248], s[16:17], v[157:158]
	v_add_f64 v[100:101], v[159:160], v[100:101]
	v_mul_f64 v[159:160], v[147:148], s[24:25]
	v_add_f64 v[104:105], v[157:158], v[104:105]
	v_mul_f64 v[147:148], v[147:148], s[34:35]
	v_fma_f64 v[157:158], v[251:252], s[16:17], -v[159:160]
	v_fma_f64 v[161:162], v[251:252], s[16:17], v[159:160]
	v_add_f64 v[106:107], v[157:158], v[106:107]
	v_fma_f64 v[157:158], v[247:248], s[18:19], -v[153:154]
	v_fma_f64 v[153:154], v[247:248], s[18:19], v[153:154]
	v_add_f64 v[102:103], v[161:162], v[102:103]
	v_add_f64 v[108:109], v[157:158], v[108:109]
	v_fma_f64 v[157:158], v[251:252], s[18:19], v[147:148]
	v_fma_f64 v[147:148], v[251:252], s[18:19], -v[147:148]
	v_add_f64 v[112:113], v[153:154], v[112:113]
	v_add_f64 v[110:111], v[157:158], v[110:111]
	;; [unrolled: 1-line block ×3, first 2 shown]
	s_and_saveexec_b32 s24, vcc_lo
	s_cbranch_execz .LBB0_7
; %bb.6:
	v_add_f64 v[58:59], v[58:59], v[18:19]
	v_add_f64 v[56:57], v[56:57], v[16:17]
	;; [unrolled: 1-line block ×4, first 2 shown]
	v_mul_f64 v[64:65], v[211:212], s[14:15]
	v_add_f64 v[58:59], v[70:71], v[58:59]
	v_add_f64 v[56:57], v[68:69], v[56:57]
	;; [unrolled: 1-line block ×17, first 2 shown]
	v_mul_f64 v[56:57], v[191:192], s[16:17]
	v_mul_f64 v[58:59], v[189:190], s[16:17]
	v_add_f64 v[50:51], v[50:51], v[54:55]
	v_add_f64 v[48:49], v[48:49], v[52:53]
	v_mul_f64 v[52:53], v[171:172], s[18:19]
	v_mul_f64 v[54:55], v[169:170], s[18:19]
	v_add_f64 v[56:57], v[219:220], v[56:57]
	v_add_f64 v[58:59], v[58:59], -v[217:218]
	v_add_f64 v[46:47], v[46:47], v[50:51]
	v_add_f64 v[44:45], v[44:45], v[48:49]
	;; [unrolled: 1-line block ×3, first 2 shown]
	v_add_f64 v[54:55], v[54:55], -v[197:198]
	v_add_f64 v[42:43], v[42:43], v[46:47]
	v_add_f64 v[40:41], v[40:41], v[44:45]
	;; [unrolled: 1-line block ×7, first 2 shown]
	s_clause 0xf
	buffer_load_dword v34, off, s[56:59], 0 offset:72
	buffer_load_dword v35, off, s[56:59], 0 offset:76
	;; [unrolled: 1-line block ×16, first 2 shown]
	v_add_f64 v[28:29], v[32:33], v[28:29]
	v_mul_f64 v[32:33], v[123:124], s[18:19]
	s_waitcnt vmcnt(14)
	v_add_f64 v[32:33], v[34:35], v[32:33]
	v_mul_f64 v[34:35], v[121:122], s[18:19]
	s_waitcnt vmcnt(12)
	v_add_f64 v[34:35], v[34:35], -v[36:37]
	v_mul_f64 v[36:37], v[123:124], s[10:11]
	v_add_f64 v[50:51], v[16:17], v[34:35]
	s_waitcnt vmcnt(10)
	v_add_f64 v[36:37], v[38:39], v[36:37]
	v_mul_f64 v[38:39], v[121:122], s[10:11]
	v_add_f64 v[36:37], v[18:19], v[36:37]
	s_waitcnt vmcnt(8)
	v_add_f64 v[38:39], v[38:39], -v[40:41]
	v_mul_f64 v[40:41], v[123:124], s[8:9]
	v_add_f64 v[38:39], v[16:17], v[38:39]
	s_waitcnt vmcnt(6)
	v_add_f64 v[40:41], v[42:43], v[40:41]
	v_mul_f64 v[42:43], v[121:122], s[8:9]
	s_waitcnt vmcnt(4)
	v_add_f64 v[42:43], v[42:43], -v[44:45]
	v_mul_f64 v[44:45], v[123:124], s[2:3]
	v_add_f64 v[34:35], v[16:17], v[42:43]
	s_waitcnt vmcnt(2)
	v_add_f64 v[44:45], v[46:47], v[44:45]
	v_mul_f64 v[46:47], v[121:122], s[2:3]
	s_clause 0x1
	buffer_load_dword v42, off, s[56:59], 0 offset:136
	buffer_load_dword v43, off, s[56:59], 0 offset:140
	s_waitcnt vmcnt(2)
	v_add_f64 v[46:47], v[46:47], -v[48:49]
	v_add_f64 v[48:49], v[18:19], v[32:33]
	v_add_f64 v[32:33], v[18:19], v[40:41]
	;; [unrolled: 1-line block ×3, first 2 shown]
	s_clause 0x1
	buffer_load_dword v44, off, s[56:59], 0 offset:128
	buffer_load_dword v45, off, s[56:59], 0 offset:132
	v_mul_f64 v[40:41], v[119:120], s[8:9]
	v_add_f64 v[16:17], v[16:17], v[46:47]
	v_mul_f64 v[46:47], v[149:150], s[10:11]
	v_add_f64 v[46:47], v[46:47], -v[155:156]
	s_waitcnt vmcnt(2)
	v_add_f64 v[40:41], v[42:43], v[40:41]
	v_mul_f64 v[42:43], v[117:118], s[8:9]
	v_add_f64 v[18:19], v[40:41], v[18:19]
	v_mul_f64 v[40:41], v[209:210], s[14:15]
	s_waitcnt vmcnt(0)
	v_add_f64 v[42:43], v[42:43], -v[44:45]
	v_mul_f64 v[44:45], v[151:152], s[10:11]
	v_add_f64 v[40:41], v[40:41], -v[237:238]
	v_add_f64 v[16:17], v[42:43], v[16:17]
	v_add_f64 v[44:45], v[179:180], v[44:45]
	v_mul_f64 v[42:43], v[231:232], s[20:21]
	v_add_f64 v[16:17], v[46:47], v[16:17]
	v_add_f64 v[18:19], v[44:45], v[18:19]
	v_mul_f64 v[44:45], v[227:228], s[20:21]
	v_add_f64 v[42:43], v[129:130], v[42:43]
	v_mul_f64 v[46:47], v[251:252], s[22:23]
	v_add_f64 v[16:17], v[54:55], v[16:17]
	v_add_f64 v[18:19], v[52:53], v[18:19]
	v_add_f64 v[44:45], v[44:45], -v[127:128]
	v_mul_f64 v[52:53], v[171:172], s[22:23]
	v_add_f64 v[46:47], v[133:134], v[46:47]
	v_mul_f64 v[54:55], v[169:170], s[22:23]
	v_add_f64 v[16:17], v[58:59], v[16:17]
	v_add_f64 v[18:19], v[56:57], v[18:19]
	v_mul_f64 v[56:57], v[191:192], s[20:21]
	v_add_f64 v[52:53], v[195:196], v[52:53]
	v_mul_f64 v[58:59], v[189:190], s[20:21]
	v_add_f64 v[54:55], v[54:55], -v[193:194]
	v_add_f64 v[16:17], v[40:41], v[16:17]
	v_add_f64 v[18:19], v[64:65], v[18:19]
	v_mul_f64 v[40:41], v[247:248], s[22:23]
	v_add_f64 v[56:57], v[215:216], v[56:57]
	v_add_f64 v[58:59], v[58:59], -v[213:214]
	v_mul_f64 v[64:65], v[211:212], s[16:17]
	v_add_f64 v[16:17], v[44:45], v[16:17]
	v_add_f64 v[18:19], v[42:43], v[18:19]
	s_clause 0x1
	buffer_load_dword v44, off, s[56:59], 0 offset:120
	buffer_load_dword v45, off, s[56:59], 0 offset:124
	v_mul_f64 v[42:43], v[119:120], s[18:19]
	v_add_f64 v[40:41], v[40:41], -v[131:132]
	v_add_f64 v[64:65], v[235:236], v[64:65]
	v_add_f64 v[18:19], v[46:47], v[18:19]
	s_clause 0x1
	buffer_load_dword v46, off, s[56:59], 0 offset:112
	buffer_load_dword v47, off, s[56:59], 0 offset:116
	v_add_f64 v[16:17], v[40:41], v[16:17]
	v_mul_f64 v[40:41], v[151:152], s[14:15]
	v_add_f64 v[40:41], v[175:176], v[40:41]
	s_waitcnt vmcnt(2)
	v_add_f64 v[42:43], v[44:45], v[42:43]
	v_mul_f64 v[44:45], v[117:118], s[18:19]
	v_add_f64 v[32:33], v[42:43], v[32:33]
	s_waitcnt vmcnt(0)
	v_add_f64 v[44:45], v[44:45], -v[46:47]
	v_mul_f64 v[46:47], v[149:150], s[14:15]
	v_mul_f64 v[42:43], v[209:210], s[16:17]
	v_add_f64 v[32:33], v[40:41], v[32:33]
	v_add_f64 v[34:35], v[44:45], v[34:35]
	v_add_f64 v[46:47], v[46:47], -v[173:174]
	v_add_f64 v[42:43], v[42:43], -v[233:234]
	v_mul_f64 v[40:41], v[231:232], s[10:11]
	v_mul_f64 v[44:45], v[227:228], s[10:11]
	v_add_f64 v[32:33], v[52:53], v[32:33]
	v_add_f64 v[34:35], v[46:47], v[34:35]
	v_mul_f64 v[46:47], v[251:252], s[2:3]
	v_add_f64 v[40:41], v[125:126], v[40:41]
	v_add_f64 v[44:45], v[44:45], -v[253:254]
	v_add_f64 v[32:33], v[56:57], v[32:33]
	v_mul_f64 v[56:57], v[191:192], s[8:9]
	v_add_f64 v[34:35], v[54:55], v[34:35]
	v_add_f64 v[46:47], v[137:138], v[46:47]
	v_mul_f64 v[54:55], v[169:170], s[16:17]
	v_add_f64 v[32:33], v[64:65], v[32:33]
	v_add_f64 v[56:57], v[207:208], v[56:57]
	;; [unrolled: 1-line block ×3, first 2 shown]
	v_mul_f64 v[58:59], v[189:190], s[8:9]
	v_add_f64 v[54:55], v[54:55], -v[185:186]
	v_mul_f64 v[64:65], v[211:212], s[2:3]
	v_add_f64 v[32:33], v[40:41], v[32:33]
	v_add_f64 v[34:35], v[42:43], v[34:35]
	v_mul_f64 v[42:43], v[247:248], s[2:3]
	v_add_f64 v[58:59], v[58:59], -v[205:206]
	v_add_f64 v[64:65], v[229:230], v[64:65]
	v_add_f64 v[40:41], v[44:45], v[34:35]
	s_clause 0x3
	buffer_load_dword v44, off, s[56:59], 0 offset:104
	buffer_load_dword v45, off, s[56:59], 0 offset:108
	;; [unrolled: 1-line block ×4, first 2 shown]
	v_add_f64 v[42:43], v[42:43], -v[135:136]
	v_add_f64 v[34:35], v[46:47], v[32:33]
	v_mul_f64 v[46:47], v[117:118], s[14:15]
	v_add_f64 v[32:33], v[42:43], v[40:41]
	v_mul_f64 v[42:43], v[119:120], s[14:15]
	v_mul_f64 v[40:41], v[151:152], s[22:23]
	v_add_f64 v[40:41], v[167:168], v[40:41]
	s_waitcnt vmcnt(2)
	v_add_f64 v[42:43], v[44:45], v[42:43]
	v_mul_f64 v[44:45], v[149:150], s[22:23]
	s_waitcnt vmcnt(0)
	v_add_f64 v[46:47], v[46:47], -v[52:53]
	v_mul_f64 v[52:53], v[171:172], s[16:17]
	v_add_f64 v[36:37], v[42:43], v[36:37]
	v_add_f64 v[44:45], v[44:45], -v[165:166]
	v_add_f64 v[38:39], v[46:47], v[38:39]
	v_add_f64 v[52:53], v[187:188], v[52:53]
	v_mul_f64 v[42:43], v[209:210], s[2:3]
	v_mul_f64 v[46:47], v[251:252], s[20:21]
	v_add_f64 v[36:37], v[40:41], v[36:37]
	v_mul_f64 v[40:41], v[231:232], s[18:19]
	v_add_f64 v[38:39], v[44:45], v[38:39]
	v_mul_f64 v[44:45], v[227:228], s[18:19]
	v_add_f64 v[42:43], v[42:43], -v[225:226]
	v_add_f64 v[46:47], v[141:142], v[46:47]
	v_add_f64 v[36:37], v[52:53], v[36:37]
	v_add_f64 v[40:41], v[249:250], v[40:41]
	v_add_f64 v[38:39], v[54:55], v[38:39]
	v_add_f64 v[44:45], v[44:45], -v[245:246]
	v_mul_f64 v[54:55], v[169:170], s[2:3]
	v_add_f64 v[36:37], v[56:57], v[36:37]
	v_mul_f64 v[56:57], v[191:192], s[10:11]
	v_add_f64 v[38:39], v[58:59], v[38:39]
	v_mul_f64 v[58:59], v[189:190], s[10:11]
	v_add_f64 v[54:55], v[54:55], -v[181:182]
	v_add_f64 v[36:37], v[64:65], v[36:37]
	v_add_f64 v[56:57], v[203:204], v[56:57]
	;; [unrolled: 1-line block ×3, first 2 shown]
	v_mul_f64 v[42:43], v[247:248], s[20:21]
	v_add_f64 v[58:59], v[58:59], -v[201:202]
	v_mul_f64 v[64:65], v[211:212], s[20:21]
	v_add_f64 v[36:37], v[40:41], v[36:37]
	v_add_f64 v[40:41], v[44:45], v[38:39]
	s_clause 0x1
	buffer_load_dword v44, off, s[56:59], 0 offset:88
	buffer_load_dword v45, off, s[56:59], 0 offset:92
	v_add_f64 v[42:43], v[42:43], -v[139:140]
	v_add_f64 v[64:65], v[223:224], v[64:65]
	v_add_f64 v[38:39], v[46:47], v[36:37]
	s_clause 0x3
	buffer_load_dword v46, off, s[56:59], 0 offset:144
	buffer_load_dword v47, off, s[56:59], 0 offset:148
	;; [unrolled: 1-line block ×4, first 2 shown]
	v_add_f64 v[36:37], v[42:43], v[40:41]
	v_mul_f64 v[42:43], v[119:120], s[22:23]
	v_mul_f64 v[40:41], v[151:152], s[16:17]
	v_add_f64 v[40:41], v[163:164], v[40:41]
	s_waitcnt vmcnt(4)
	v_add_f64 v[42:43], v[44:45], v[42:43]
	v_mul_f64 v[44:45], v[149:150], s[16:17]
	v_add_f64 v[42:43], v[42:43], v[48:49]
	s_waitcnt vmcnt(2)
	v_add_f64 v[44:45], v[44:45], -v[46:47]
	v_mul_f64 v[46:47], v[117:118], s[22:23]
	v_mul_f64 v[48:49], v[209:210], s[20:21]
	v_add_f64 v[40:41], v[40:41], v[42:43]
	s_waitcnt vmcnt(0)
	v_add_f64 v[46:47], v[46:47], -v[52:53]
	v_mul_f64 v[52:53], v[171:172], s[2:3]
	v_add_f64 v[48:49], v[48:49], -v[221:222]
	v_add_f64 v[46:47], v[46:47], v[50:51]
	v_add_f64 v[52:53], v[183:184], v[52:53]
	v_mul_f64 v[50:51], v[251:252], s[8:9]
	v_add_f64 v[42:43], v[44:45], v[46:47]
	v_add_f64 v[40:41], v[52:53], v[40:41]
	v_mul_f64 v[44:45], v[231:232], s[14:15]
	v_mul_f64 v[46:47], v[227:228], s[14:15]
	v_add_f64 v[50:51], v[145:146], v[50:51]
	v_add_f64 v[42:43], v[54:55], v[42:43]
	;; [unrolled: 1-line block ×4, first 2 shown]
	v_add_f64 v[46:47], v[46:47], -v[241:242]
	v_add_f64 v[42:43], v[58:59], v[42:43]
	v_add_f64 v[40:41], v[64:65], v[40:41]
	;; [unrolled: 1-line block ×3, first 2 shown]
	v_mul_f64 v[48:49], v[247:248], s[8:9]
	v_add_f64 v[40:41], v[44:45], v[40:41]
	v_add_f64 v[44:45], v[46:47], v[42:43]
	v_add_f64 v[48:49], v[48:49], -v[143:144]
	v_add_f64 v[42:43], v[50:51], v[40:41]
	v_and_b32_e32 v46, 0xffff, v178
	v_add_f64 v[40:41], v[48:49], v[44:45]
	buffer_load_dword v44, off, s[56:59], 0 ; 4-byte Folded Reload
	s_waitcnt vmcnt(0)
	v_add_lshl_u32 v44, v44, v46, 4
	ds_write_b128 v44, v[20:23] offset:80
	ds_write_b128 v44, v[60:63] offset:96
	;; [unrolled: 1-line block ×15, first 2 shown]
	ds_write_b128 v44, v[28:31]
	ds_write_b128 v44, v[0:3] offset:256
.LBB0_7:
	s_or_b32 exec_lo, exec_lo, s24
	v_lshlrev_b32_e32 v16, 6, v177
	s_load_dwordx4 s[0:3], s[0:1], 0x0
	s_waitcnt lgkmcnt(0)
	s_barrier
	buffer_gl0_inv
	s_clause 0x3
	global_load_dwordx4 v[36:39], v16, s[4:5]
	global_load_dwordx4 v[32:35], v16, s[4:5] offset:16
	global_load_dwordx4 v[28:31], v16, s[4:5] offset:32
	;; [unrolled: 1-line block ×3, first 2 shown]
	buffer_load_dword v40, off, s[56:59], 0 ; 4-byte Folded Reload
	s_mov_b32 s4, 0x134454ff
	s_mov_b32 s5, 0x3fee6f0e
	;; [unrolled: 1-line block ×4, first 2 shown]
	s_waitcnt vmcnt(0)
	v_add_lshl_u32 v179, v40, v177, 4
	ds_read_b128 v[40:43], v179 offset:272
	ds_read_b128 v[44:47], v179 offset:544
	;; [unrolled: 1-line block ×4, first 2 shown]
	s_waitcnt lgkmcnt(3)
	v_mul_f64 v[56:57], v[42:43], v[38:39]
	s_waitcnt lgkmcnt(2)
	v_mul_f64 v[58:59], v[46:47], v[34:35]
	;; [unrolled: 2-line block ×4, first 2 shown]
	v_mul_f64 v[66:67], v[40:41], v[38:39]
	v_mul_f64 v[70:71], v[44:45], v[34:35]
	;; [unrolled: 1-line block ×4, first 2 shown]
	v_fma_f64 v[56:57], v[40:41], v[36:37], -v[56:57]
	v_fma_f64 v[44:45], v[44:45], v[32:33], -v[58:59]
	;; [unrolled: 1-line block ×4, first 2 shown]
	v_fma_f64 v[58:59], v[42:43], v[36:37], v[66:67]
	v_fma_f64 v[46:47], v[46:47], v[32:33], v[70:71]
	;; [unrolled: 1-line block ×4, first 2 shown]
	ds_read_b128 v[40:43], v179
	v_add_f64 v[64:65], v[44:45], v[48:49]
	v_add_f64 v[66:67], v[56:57], v[52:53]
	v_add_f64 v[80:81], v[56:57], -v[52:53]
	v_add_f64 v[82:83], v[52:53], -v[48:49]
	v_add_f64 v[68:69], v[46:47], v[50:51]
	v_add_f64 v[70:71], v[58:59], v[54:55]
	s_waitcnt lgkmcnt(0)
	v_add_f64 v[72:73], v[40:41], v[56:57]
	v_add_f64 v[74:75], v[58:59], -v[54:55]
	v_add_f64 v[76:77], v[46:47], -v[50:51]
	v_add_f64 v[78:79], v[42:43], v[58:59]
	v_add_f64 v[84:85], v[48:49], -v[52:53]
	v_add_f64 v[86:87], v[58:59], -v[46:47]
	;; [unrolled: 1-line block ×5, first 2 shown]
	v_fma_f64 v[64:65], v[64:65], -0.5, v[40:41]
	v_fma_f64 v[40:41], v[66:67], -0.5, v[40:41]
	v_add_f64 v[66:67], v[44:45], -v[48:49]
	v_fma_f64 v[68:69], v[68:69], -0.5, v[42:43]
	v_fma_f64 v[42:43], v[70:71], -0.5, v[42:43]
	v_add_f64 v[70:71], v[56:57], -v[44:45]
	v_add_f64 v[56:57], v[44:45], -v[56:57]
	v_add_f64 v[44:45], v[72:73], v[44:45]
	v_add_f64 v[46:47], v[78:79], v[46:47]
	v_fma_f64 v[72:73], v[74:75], s[4:5], v[64:65]
	v_fma_f64 v[64:65], v[74:75], s[8:9], v[64:65]
	;; [unrolled: 1-line block ×8, first 2 shown]
	s_mov_b32 s4, 0x4755a5e
	s_mov_b32 s5, 0x3fe2cf23
	;; [unrolled: 1-line block ×4, first 2 shown]
	v_add_f64 v[70:71], v[70:71], v[82:83]
	v_add_f64 v[82:83], v[56:57], v[84:85]
	;; [unrolled: 1-line block ×6, first 2 shown]
	v_fma_f64 v[48:49], v[76:77], s[4:5], v[72:73]
	v_fma_f64 v[50:51], v[76:77], s[8:9], v[64:65]
	;; [unrolled: 1-line block ×8, first 2 shown]
	s_mov_b32 s4, 0x372fe950
	s_mov_b32 s5, 0x3fd3c6ef
	v_add_f64 v[40:41], v[44:45], v[52:53]
	v_add_f64 v[42:43], v[46:47], v[54:55]
	v_fma_f64 v[56:57], v[70:71], s[4:5], v[48:49]
	v_fma_f64 v[44:45], v[70:71], s[4:5], v[50:51]
	;; [unrolled: 1-line block ×4, first 2 shown]
	buffer_load_dword v64, off, s[56:59], 0 offset:4 ; 4-byte Folded Reload
	v_fma_f64 v[58:59], v[84:85], s[4:5], v[72:73]
	v_fma_f64 v[54:55], v[86:87], s[4:5], v[74:75]
	;; [unrolled: 1-line block ×4, first 2 shown]
	s_waitcnt vmcnt(0)
	v_lshl_add_u32 v180, v177, 4, v64
	ds_write_b128 v180, v[40:43]
	ds_write_b128 v180, v[56:59] offset:272
	ds_write_b128 v180, v[52:55] offset:544
	;; [unrolled: 1-line block ×4, first 2 shown]
	s_waitcnt lgkmcnt(0)
	s_barrier
	buffer_gl0_inv
	s_and_saveexec_b32 s8, vcc_lo
	s_cbranch_execz .LBB0_9
; %bb.8:
	global_load_dwordx4 v[64:67], v255, s[6:7] offset:1360
	s_add_u32 s4, s6, 0x550
	s_addc_u32 s5, s7, 0
	s_clause 0xb
	global_load_dwordx4 v[68:71], v255, s[4:5] offset:80
	global_load_dwordx4 v[72:75], v255, s[4:5] offset:160
	;; [unrolled: 1-line block ×12, first 2 shown]
	ds_read_b128 v[137:140], v180
	ds_read_b128 v[141:144], v180 offset:80
	ds_read_b128 v[145:148], v180 offset:160
	s_waitcnt vmcnt(11) lgkmcnt(1)
	v_mul_f64 v[151:152], v[143:144], v[70:71]
	v_mul_f64 v[70:71], v[141:142], v[70:71]
	;; [unrolled: 1-line block ×4, first 2 shown]
	v_fma_f64 v[141:142], v[141:142], v[68:69], -v[151:152]
	v_fma_f64 v[143:144], v[143:144], v[68:69], v[70:71]
	ds_read_b128 v[68:71], v180 offset:320
	v_fma_f64 v[137:138], v[137:138], v[64:65], -v[149:150]
	v_fma_f64 v[139:140], v[139:140], v[64:65], v[66:67]
	ds_read_b128 v[64:67], v180 offset:240
	s_waitcnt vmcnt(10) lgkmcnt(2)
	v_mul_f64 v[149:150], v[147:148], v[74:75]
	v_mul_f64 v[74:75], v[145:146], v[74:75]
	s_waitcnt vmcnt(9) lgkmcnt(0)
	v_mul_f64 v[151:152], v[66:67], v[78:79]
	v_mul_f64 v[78:79], v[64:65], v[78:79]
	v_fma_f64 v[145:146], v[145:146], v[72:73], -v[149:150]
	v_fma_f64 v[147:148], v[147:148], v[72:73], v[74:75]
	ds_read_b128 v[72:75], v180 offset:400
	s_waitcnt vmcnt(8)
	v_mul_f64 v[149:150], v[70:71], v[82:83]
	v_mul_f64 v[82:83], v[68:69], v[82:83]
	v_fma_f64 v[64:65], v[64:65], v[76:77], -v[151:152]
	v_fma_f64 v[66:67], v[66:67], v[76:77], v[78:79]
	ds_read_b128 v[76:79], v180 offset:480
	s_waitcnt vmcnt(7) lgkmcnt(1)
	v_mul_f64 v[151:152], v[74:75], v[86:87]
	v_mul_f64 v[86:87], v[72:73], v[86:87]
	v_fma_f64 v[68:69], v[68:69], v[80:81], -v[149:150]
	v_fma_f64 v[70:71], v[70:71], v[80:81], v[82:83]
	ds_read_b128 v[80:83], v180 offset:560
	s_waitcnt vmcnt(6) lgkmcnt(1)
	;; [unrolled: 6-line block ×5, first 2 shown]
	v_mul_f64 v[153:154], v[94:95], v[123:124]
	v_mul_f64 v[123:124], v[92:93], v[123:124]
	v_fma_f64 v[84:85], v[84:85], v[117:118], -v[149:150]
	v_fma_f64 v[86:87], v[86:87], v[117:118], v[119:120]
	ds_read_b128 v[117:120], v180 offset:880
	global_load_dwordx4 v[149:152], v255, s[4:5] offset:1040
	v_fma_f64 v[92:93], v[92:93], v[121:122], -v[153:154]
	v_fma_f64 v[94:95], v[94:95], v[121:122], v[123:124]
	s_waitcnt vmcnt(3) lgkmcnt(1)
	v_mul_f64 v[121:122], v[98:99], v[127:128]
	v_mul_f64 v[123:124], v[96:97], v[127:128]
	s_waitcnt vmcnt(2) lgkmcnt(0)
	v_mul_f64 v[153:154], v[119:120], v[131:132]
	v_mul_f64 v[131:132], v[117:118], v[131:132]
	v_fma_f64 v[96:97], v[96:97], v[125:126], -v[121:122]
	v_fma_f64 v[98:99], v[98:99], v[125:126], v[123:124]
	ds_read_b128 v[121:124], v180 offset:960
	ds_read_b128 v[125:128], v180 offset:1040
	v_fma_f64 v[117:118], v[117:118], v[129:130], -v[153:154]
	v_fma_f64 v[119:120], v[119:120], v[129:130], v[131:132]
	global_load_dwordx4 v[129:132], v255, s[4:5] offset:1120
	s_waitcnt vmcnt(2) lgkmcnt(1)
	v_mul_f64 v[153:154], v[123:124], v[135:136]
	v_mul_f64 v[135:136], v[121:122], v[135:136]
	v_fma_f64 v[121:122], v[121:122], v[133:134], -v[153:154]
	v_fma_f64 v[123:124], v[123:124], v[133:134], v[135:136]
	global_load_dwordx4 v[133:136], v255, s[4:5] offset:1200
	s_waitcnt vmcnt(2) lgkmcnt(0)
	v_mul_f64 v[153:154], v[127:128], v[151:152]
	v_mul_f64 v[151:152], v[125:126], v[151:152]
	v_fma_f64 v[125:126], v[125:126], v[149:150], -v[153:154]
	v_fma_f64 v[127:128], v[127:128], v[149:150], v[151:152]
	ds_read_b128 v[149:152], v180 offset:1120
	ds_read_b128 v[153:156], v180 offset:1200
	s_waitcnt vmcnt(1) lgkmcnt(1)
	v_mul_f64 v[157:158], v[151:152], v[131:132]
	v_mul_f64 v[131:132], v[149:150], v[131:132]
	v_fma_f64 v[149:150], v[149:150], v[129:130], -v[157:158]
	v_fma_f64 v[151:152], v[151:152], v[129:130], v[131:132]
	s_waitcnt vmcnt(0) lgkmcnt(0)
	v_mul_f64 v[129:130], v[155:156], v[135:136]
	v_mul_f64 v[131:132], v[153:154], v[135:136]
	v_fma_f64 v[129:130], v[153:154], v[133:134], -v[129:130]
	v_fma_f64 v[131:132], v[155:156], v[133:134], v[131:132]
	global_load_dwordx4 v[133:136], v255, s[4:5] offset:1280
	ds_read_b128 v[153:156], v180 offset:1280
	s_waitcnt vmcnt(0) lgkmcnt(0)
	v_mul_f64 v[157:158], v[155:156], v[135:136]
	v_mul_f64 v[135:136], v[153:154], v[135:136]
	v_fma_f64 v[153:154], v[153:154], v[133:134], -v[157:158]
	v_fma_f64 v[155:156], v[155:156], v[133:134], v[135:136]
	ds_write_b128 v180, v[137:140]
	ds_write_b128 v180, v[141:144] offset:80
	ds_write_b128 v180, v[145:148] offset:160
	;; [unrolled: 1-line block ×16, first 2 shown]
.LBB0_9:
	s_or_b32 exec_lo, exec_lo, s8
	s_waitcnt lgkmcnt(0)
	s_barrier
	buffer_gl0_inv
	s_and_saveexec_b32 s4, vcc_lo
	s_cbranch_execz .LBB0_11
; %bb.10:
	ds_read_b128 v[40:43], v180
	ds_read_b128 v[56:59], v180 offset:80
	ds_read_b128 v[52:55], v180 offset:160
	;; [unrolled: 1-line block ×16, first 2 shown]
.LBB0_11:
	s_or_b32 exec_lo, exec_lo, s4
	s_waitcnt lgkmcnt(0)
	s_barrier
	buffer_gl0_inv
	s_and_saveexec_b32 s33, vcc_lo
	s_cbranch_execz .LBB0_13
; %bb.12:
	v_add_f64 v[121:122], v[56:57], -v[0:1]
	v_add_f64 v[131:132], v[58:59], -v[2:3]
	s_mov_b32 s8, 0xacd6c6b4
	s_mov_b32 s9, 0xbfc7851a
	v_add_f64 v[127:128], v[52:53], -v[4:5]
	v_add_f64 v[123:124], v[58:59], v[2:3]
	v_add_f64 v[129:130], v[54:55], -v[6:7]
	v_add_f64 v[125:126], v[56:57], v[0:1]
	s_mov_b32 s14, 0x4363dd80
	s_mov_b32 s28, 0x5d8e7cdc
	;; [unrolled: 1-line block ×6, first 2 shown]
	v_add_f64 v[153:154], v[48:49], -v[8:9]
	v_add_f64 v[137:138], v[54:55], v[6:7]
	v_add_f64 v[157:158], v[50:51], -v[10:11]
	v_add_f64 v[159:160], v[52:53], v[4:5]
	s_mov_b32 s10, 0x7c9e640b
	s_mov_b32 s24, 0x910ea3b9
	;; [unrolled: 1-line block ×4, first 2 shown]
	v_mul_f64 v[64:65], v[121:122], s[8:9]
	v_mul_f64 v[66:67], v[131:132], s[8:9]
	;; [unrolled: 1-line block ×5, first 2 shown]
	s_mov_b32 s25, 0xbfeb34fa
	v_mul_f64 v[74:75], v[129:130], s[28:29]
	s_mov_b32 s27, 0x3fedd6d0
	v_add_f64 v[135:136], v[44:45], -v[12:13]
	v_mul_f64 v[80:81], v[127:128], s[10:11]
	v_add_f64 v[147:148], v[50:51], v[10:11]
	v_add_f64 v[169:170], v[46:47], -v[14:15]
	v_add_f64 v[155:156], v[48:49], v[8:9]
	v_mul_f64 v[173:174], v[129:130], s[10:11]
	v_mul_f64 v[84:85], v[153:154], s[14:15]
	s_mov_b32 s54, 0xeb564b22
	v_mul_f64 v[86:87], v[157:158], s[14:15]
	s_mov_b32 s4, 0x2b2883cd
	s_mov_b32 s42, 0x2a9d6da3
	;; [unrolled: 1-line block ×5, first 2 shown]
	v_fma_f64 v[76:77], v[123:124], s[18:19], v[64:65]
	v_fma_f64 v[78:79], v[125:126], s[18:19], -v[66:67]
	v_fma_f64 v[64:65], v[123:124], s[18:19], -v[64:65]
	v_fma_f64 v[66:67], v[125:126], s[18:19], v[66:67]
	v_fma_f64 v[82:83], v[123:124], s[24:25], v[68:69]
	v_fma_f64 v[133:134], v[125:126], s[24:25], -v[70:71]
	v_fma_f64 v[139:140], v[137:138], s[26:27], v[72:73]
	v_fma_f64 v[141:142], v[159:160], s[26:27], -v[74:75]
	s_mov_b32 s30, s54
	s_mov_b32 s43, 0x3fe58eea
	v_add_f64 v[119:120], v[20:21], -v[24:25]
	v_mul_f64 v[175:176], v[153:154], s[30:31]
	v_fma_f64 v[72:73], v[137:138], s[26:27], -v[72:73]
	v_fma_f64 v[74:75], v[159:160], s[26:27], v[74:75]
	v_fma_f64 v[143:144], v[137:138], s[4:5], v[80:81]
	v_add_f64 v[145:146], v[46:47], v[14:15]
	v_add_f64 v[167:168], v[22:23], -v[26:27]
	v_add_f64 v[151:152], v[44:45], v[12:13]
	v_mul_f64 v[149:150], v[135:136], s[42:43]
	v_mul_f64 v[181:182], v[157:158], s[30:31]
	v_fma_f64 v[161:162], v[159:160], s[4:5], -v[173:174]
	v_mul_f64 v[165:166], v[169:170], s[42:43]
	v_add_f64 v[76:77], v[42:43], v[76:77]
	v_add_f64 v[78:79], v[40:41], v[78:79]
	;; [unrolled: 1-line block ×6, first 2 shown]
	v_fma_f64 v[171:172], v[147:148], s[24:25], v[84:85]
	v_fma_f64 v[183:184], v[155:156], s[24:25], -v[86:87]
	s_mov_b32 s16, 0x3259b75e
	s_mov_b32 s20, 0x6c9a05f6
	;; [unrolled: 1-line block ×8, first 2 shown]
	v_add_f64 v[117:118], v[60:61], -v[88:89]
	v_add_f64 v[98:99], v[22:23], v[26:27]
	v_fma_f64 v[84:85], v[147:148], s[24:25], -v[84:85]
	v_fma_f64 v[86:87], v[155:156], s[24:25], v[86:87]
	v_add_f64 v[163:164], v[62:63], -v[90:91]
	v_mul_f64 v[185:186], v[169:170], s[46:47]
	v_add_f64 v[76:77], v[139:140], v[76:77]
	v_add_f64 v[78:79], v[141:142], v[78:79]
	;; [unrolled: 1-line block ×3, first 2 shown]
	v_mul_f64 v[72:73], v[135:136], s[46:47]
	v_fma_f64 v[139:140], v[147:148], s[16:17], v[175:176]
	v_add_f64 v[66:67], v[74:75], v[66:67]
	v_add_f64 v[74:75], v[143:144], v[82:83]
	;; [unrolled: 1-line block ×3, first 2 shown]
	v_mul_f64 v[82:83], v[119:120], s[20:21]
	v_fma_f64 v[187:188], v[155:156], s[16:17], -v[181:182]
	v_add_f64 v[161:162], v[161:162], v[133:134]
	v_mul_f64 v[189:190], v[167:168], s[20:21]
	v_fma_f64 v[191:192], v[145:146], s[38:39], v[149:150]
	v_fma_f64 v[193:194], v[151:152], s[38:39], -v[165:166]
	s_mov_b32 s22, 0x6ed5f1bb
	s_mov_b32 s23, 0xbfe348c8
	;; [unrolled: 1-line block ×4, first 2 shown]
	v_add_f64 v[96:97], v[100:101], -v[104:105]
	v_fma_f64 v[195:196], v[145:146], s[38:39], -v[149:150]
	v_add_f64 v[143:144], v[62:63], v[90:91]
	v_add_f64 v[149:150], v[60:61], v[88:89]
	;; [unrolled: 1-line block ×5, first 2 shown]
	v_mul_f64 v[84:85], v[119:120], s[40:41]
	v_fma_f64 v[171:172], v[151:152], s[38:39], v[165:166]
	v_fma_f64 v[183:184], v[145:146], s[22:23], v[72:73]
	v_add_f64 v[66:67], v[86:87], v[66:67]
	v_add_f64 v[74:75], v[139:140], v[74:75]
	v_add_f64 v[165:166], v[102:103], -v[106:107]
	v_mul_f64 v[86:87], v[117:118], s[10:11]
	v_mul_f64 v[197:198], v[167:168], s[40:41]
	v_fma_f64 v[199:200], v[151:152], s[22:23], -v[185:186]
	v_add_f64 v[187:188], v[187:188], v[161:162]
	v_mul_f64 v[201:202], v[163:164], s[10:11]
	v_fma_f64 v[203:204], v[98:99], s[22:23], v[82:83]
	v_fma_f64 v[205:206], v[141:142], s[22:23], -v[189:190]
	s_mov_b32 s36, 0x923c349f
	s_mov_b32 s37, 0xbfeec746
	v_add_f64 v[94:95], v[108:109], -v[112:113]
	v_add_f64 v[133:134], v[102:103], v[106:107]
	v_fma_f64 v[82:83], v[98:99], s[22:23], -v[82:83]
	v_fma_f64 v[189:190], v[141:142], s[22:23], v[189:190]
	v_add_f64 v[76:77], v[191:192], v[76:77]
	v_add_f64 v[78:79], v[193:194], v[78:79]
	;; [unrolled: 1-line block ×3, first 2 shown]
	v_mul_f64 v[191:192], v[117:118], s[8:9]
	v_fma_f64 v[68:69], v[123:124], s[24:25], -v[68:69]
	v_fma_f64 v[193:194], v[98:99], s[26:27], v[84:85]
	v_add_f64 v[66:67], v[171:172], v[66:67]
	v_add_f64 v[74:75], v[183:184], v[74:75]
	v_add_f64 v[171:172], v[110:111], -v[114:115]
	v_add_f64 v[161:162], v[100:101], v[104:105]
	v_mul_f64 v[183:184], v[96:97], s[36:37]
	v_mul_f64 v[195:196], v[163:164], s[8:9]
	v_fma_f64 v[207:208], v[141:142], s[26:27], -v[197:198]
	v_add_f64 v[187:188], v[199:200], v[187:188]
	v_mul_f64 v[199:200], v[165:166], s[36:37]
	v_fma_f64 v[209:210], v[143:144], s[4:5], v[86:87]
	v_fma_f64 v[211:212], v[149:150], s[4:5], -v[201:202]
	s_mov_b32 s34, 0xc61f0d01
	s_mov_b32 s35, 0xbfd183b1
	v_add_f64 v[92:93], v[110:111], v[114:115]
	v_add_f64 v[139:140], v[108:109], v[112:113]
	v_fma_f64 v[86:87], v[143:144], s[4:5], -v[86:87]
	v_add_f64 v[76:77], v[203:204], v[76:77]
	v_add_f64 v[78:79], v[205:206], v[78:79]
	;; [unrolled: 1-line block ×3, first 2 shown]
	v_fma_f64 v[82:83], v[149:150], s[4:5], v[201:202]
	v_fma_f64 v[80:81], v[137:138], s[4:5], -v[80:81]
	v_add_f64 v[68:69], v[42:43], v[68:69]
	v_add_f64 v[66:67], v[189:190], v[66:67]
	v_mul_f64 v[189:190], v[96:97], s[42:43]
	v_fma_f64 v[201:202], v[143:144], s[18:19], v[191:192]
	v_add_f64 v[74:75], v[193:194], v[74:75]
	v_mul_f64 v[193:194], v[94:95], s[54:55]
	v_mul_f64 v[203:204], v[171:172], s[54:55]
	;; [unrolled: 1-line block ×4, first 2 shown]
	v_fma_f64 v[217:218], v[149:150], s[18:19], -v[195:196]
	v_add_f64 v[187:188], v[207:208], v[187:188]
	v_mul_f64 v[207:208], v[131:132], s[20:21]
	v_fma_f64 v[219:220], v[133:134], s[34:35], v[183:184]
	v_fma_f64 v[221:222], v[161:162], s[34:35], -v[199:200]
	s_mov_b32 s45, 0x3feec746
	s_mov_b32 s44, s36
	v_mul_f64 v[205:206], v[94:95], s[36:37]
	v_add_f64 v[76:77], v[209:210], v[76:77]
	v_add_f64 v[78:79], v[211:212], v[78:79]
	v_fma_f64 v[183:184], v[133:134], s[34:35], -v[183:184]
	v_add_f64 v[64:65], v[86:87], v[64:65]
	v_fma_f64 v[86:87], v[161:162], s[34:35], v[199:200]
	v_fma_f64 v[175:176], v[147:148], s[16:17], -v[175:176]
	v_add_f64 v[68:69], v[80:81], v[68:69]
	v_add_f64 v[66:67], v[82:83], v[66:67]
	v_fma_f64 v[80:81], v[133:134], s[38:39], v[189:190]
	v_fma_f64 v[70:71], v[125:126], s[24:25], v[70:71]
	v_add_f64 v[74:75], v[201:202], v[74:75]
	v_mul_f64 v[82:83], v[171:172], s[36:37]
	v_mul_f64 v[199:200], v[127:128], s[44:45]
	;; [unrolled: 1-line block ×3, first 2 shown]
	v_fma_f64 v[209:210], v[92:93], s[16:17], v[193:194]
	v_fma_f64 v[211:212], v[139:140], s[16:17], -v[203:204]
	v_fma_f64 v[223:224], v[161:162], s[38:39], -v[213:214]
	v_add_f64 v[187:188], v[217:218], v[187:188]
	v_fma_f64 v[217:218], v[123:124], s[22:23], v[215:216]
	v_fma_f64 v[193:194], v[92:93], s[16:17], -v[193:194]
	v_fma_f64 v[203:204], v[139:140], s[16:17], v[203:204]
	v_fma_f64 v[225:226], v[92:93], s[34:35], v[205:206]
	v_add_f64 v[76:77], v[219:220], v[76:77]
	v_add_f64 v[78:79], v[221:222], v[78:79]
	v_fma_f64 v[219:220], v[125:126], s[22:23], -v[207:208]
	v_add_f64 v[183:184], v[183:184], v[64:65]
	v_fma_f64 v[72:73], v[145:146], s[22:23], -v[72:73]
	v_fma_f64 v[173:174], v[159:160], s[4:5], v[173:174]
	v_add_f64 v[68:69], v[175:176], v[68:69]
	v_add_f64 v[86:87], v[86:87], v[66:67]
	v_mul_f64 v[175:176], v[153:154], s[40:41]
	v_add_f64 v[70:71], v[40:41], v[70:71]
	v_add_f64 v[80:81], v[80:81], v[74:75]
	v_mul_f64 v[221:222], v[157:158], s[40:41]
	v_mul_f64 v[227:228], v[121:122], s[36:37]
	v_fma_f64 v[229:230], v[139:140], s[34:35], -v[82:83]
	v_fma_f64 v[215:216], v[123:124], s[22:23], -v[215:216]
	v_fma_f64 v[207:208], v[125:126], s[22:23], v[207:208]
	s_mov_b32 s49, 0x3fe0d888
	v_add_f64 v[187:188], v[223:224], v[187:188]
	v_fma_f64 v[223:224], v[137:138], s[34:35], v[199:200]
	v_add_f64 v[217:218], v[42:43], v[217:218]
	s_mov_b32 s48, s14
	v_fma_f64 v[84:85], v[98:99], s[26:27], -v[84:85]
	v_add_f64 v[66:67], v[209:210], v[76:77]
	v_add_f64 v[64:65], v[211:212], v[78:79]
	v_fma_f64 v[76:77], v[159:160], s[34:35], -v[201:202]
	v_add_f64 v[78:79], v[40:41], v[219:220]
	v_add_f64 v[74:75], v[193:194], v[183:184]
	v_mul_f64 v[193:194], v[127:128], s[48:49]
	v_add_f64 v[183:184], v[72:73], v[68:69]
	v_add_f64 v[72:73], v[203:204], v[86:87]
	v_fma_f64 v[86:87], v[155:156], s[16:17], v[181:182]
	v_add_f64 v[173:174], v[173:174], v[70:71]
	v_add_f64 v[70:71], v[225:226], v[80:81]
	v_fma_f64 v[80:81], v[137:138], s[34:35], -v[199:200]
	v_mul_f64 v[181:182], v[131:132], s[36:37]
	v_fma_f64 v[199:200], v[123:124], s[34:35], -v[227:228]
	v_add_f64 v[203:204], v[42:43], v[215:216]
	v_fma_f64 v[209:210], v[147:148], s[26:27], v[175:176]
	v_fma_f64 v[201:202], v[159:160], s[34:35], v[201:202]
	v_add_f64 v[68:69], v[229:230], v[187:188]
	v_mul_f64 v[187:188], v[135:136], s[14:15]
	v_add_f64 v[211:212], v[223:224], v[217:218]
	v_add_f64 v[207:208], v[40:41], v[207:208]
	v_mul_f64 v[215:216], v[169:170], s[14:15]
	v_fma_f64 v[217:218], v[155:156], s[26:27], -v[221:222]
	v_fma_f64 v[175:176], v[147:148], s[26:27], -v[175:176]
	s_mov_b32 s53, 0xbfe58eea
	v_add_f64 v[76:77], v[76:77], v[78:79]
	s_mov_b32 s52, s42
	v_fma_f64 v[223:224], v[137:138], s[24:25], -v[193:194]
	v_add_f64 v[78:79], v[84:85], v[183:184]
	v_fma_f64 v[84:85], v[141:142], s[26:27], v[197:198]
	v_fma_f64 v[183:184], v[151:152], s[22:23], v[185:186]
	v_add_f64 v[86:87], v[86:87], v[173:174]
	v_fma_f64 v[173:174], v[123:124], s[34:35], v[227:228]
	v_mul_f64 v[197:198], v[129:130], s[48:49]
	v_fma_f64 v[219:220], v[125:126], s[34:35], -v[181:182]
	v_add_f64 v[199:200], v[42:43], v[199:200]
	v_add_f64 v[80:81], v[80:81], v[203:204]
	v_mul_f64 v[203:204], v[119:120], s[54:55]
	v_fma_f64 v[191:192], v[143:144], s[18:19], -v[191:192]
	v_fma_f64 v[193:194], v[137:138], s[24:25], v[193:194]
	v_fma_f64 v[225:226], v[145:146], s[24:25], v[187:188]
	v_add_f64 v[209:210], v[209:210], v[211:212]
	v_fma_f64 v[211:212], v[155:156], s[26:27], v[221:222]
	v_add_f64 v[201:202], v[201:202], v[207:208]
	v_mul_f64 v[207:208], v[167:168], s[54:55]
	v_fma_f64 v[221:222], v[151:152], s[24:25], -v[215:216]
	v_fma_f64 v[187:188], v[145:146], s[24:25], -v[187:188]
	v_add_f64 v[76:77], v[217:218], v[76:77]
	v_mul_f64 v[227:228], v[157:158], s[42:43]
	v_fma_f64 v[215:216], v[151:152], s[24:25], v[215:216]
	v_mul_f64 v[185:186], v[153:154], s[42:43]
	v_fma_f64 v[189:190], v[133:134], s[38:39], -v[189:190]
	s_mov_b32 s51, 0xbfeca52d
	v_add_f64 v[86:87], v[183:184], v[86:87]
	v_add_f64 v[173:174], v[42:43], v[173:174]
	v_fma_f64 v[229:230], v[159:160], s[24:25], -v[197:198]
	v_add_f64 v[219:220], v[40:41], v[219:220]
	v_add_f64 v[199:200], v[223:224], v[199:200]
	;; [unrolled: 1-line block ×3, first 2 shown]
	v_mul_f64 v[175:176], v[117:118], s[52:53]
	v_fma_f64 v[183:184], v[98:99], s[16:17], v[203:204]
	v_add_f64 v[78:79], v[191:192], v[78:79]
	v_fma_f64 v[191:192], v[149:150], s[18:19], v[195:196]
	v_add_f64 v[209:210], v[225:226], v[209:210]
	v_fma_f64 v[195:196], v[98:99], s[16:17], -v[203:204]
	v_add_f64 v[201:202], v[211:212], v[201:202]
	v_mul_f64 v[211:212], v[163:164], s[52:53]
	v_fma_f64 v[223:224], v[141:142], s[16:17], -v[207:208]
	v_fma_f64 v[207:208], v[141:142], s[16:17], v[207:208]
	v_add_f64 v[76:77], v[221:222], v[76:77]
	v_fma_f64 v[221:222], v[155:156], s[38:39], -v[227:228]
	s_mov_b32 s50, s10
	v_fma_f64 v[231:232], v[147:148], s[38:39], -v[185:186]
	v_mul_f64 v[217:218], v[135:136], s[50:51]
	v_fma_f64 v[181:182], v[125:126], s[34:35], v[181:182]
	v_add_f64 v[84:85], v[84:85], v[86:87]
	v_add_f64 v[173:174], v[193:194], v[173:174]
	v_mul_f64 v[193:194], v[119:120], s[8:9]
	v_add_f64 v[219:220], v[229:230], v[219:220]
	v_mul_f64 v[86:87], v[96:97], s[8:9]
	v_add_f64 v[80:81], v[187:188], v[80:81]
	v_fma_f64 v[187:188], v[143:144], s[38:39], v[175:176]
	v_fma_f64 v[185:186], v[147:148], s[38:39], v[185:186]
	v_add_f64 v[78:79], v[189:190], v[78:79]
	v_fma_f64 v[189:190], v[161:162], s[38:39], v[213:214]
	v_add_f64 v[183:184], v[183:184], v[209:210]
	v_mul_f64 v[209:210], v[165:166], s[8:9]
	v_add_f64 v[201:202], v[215:216], v[201:202]
	v_fma_f64 v[215:216], v[149:150], s[38:39], -v[211:212]
	v_mul_f64 v[203:204], v[169:170], s[50:51]
	v_fma_f64 v[197:198], v[159:160], s[24:25], v[197:198]
	v_add_f64 v[76:77], v[223:224], v[76:77]
	v_fma_f64 v[175:176], v[143:144], s[38:39], -v[175:176]
	v_fma_f64 v[205:206], v[92:93], s[34:35], -v[205:206]
	v_add_f64 v[199:200], v[231:232], v[199:200]
	v_fma_f64 v[225:226], v[145:146], s[4:5], -v[217:218]
	v_add_f64 v[181:182], v[40:41], v[181:182]
	v_add_f64 v[84:85], v[191:192], v[84:85]
	v_fma_f64 v[213:214], v[145:146], s[4:5], v[217:218]
	v_mul_f64 v[217:218], v[167:168], s[8:9]
	v_add_f64 v[219:220], v[221:222], v[219:220]
	v_fma_f64 v[221:222], v[98:99], s[18:19], -v[193:194]
	v_add_f64 v[80:81], v[195:196], v[80:81]
	v_fma_f64 v[195:196], v[133:134], s[18:19], v[86:87]
	v_add_f64 v[173:174], v[185:186], v[173:174]
	v_mul_f64 v[185:186], v[117:118], s[54:55]
	v_mul_f64 v[191:192], v[94:95], s[10:11]
	v_add_f64 v[183:184], v[187:188], v[183:184]
	v_fma_f64 v[187:188], v[149:150], s[38:39], v[211:212]
	v_add_f64 v[201:202], v[207:208], v[201:202]
	v_fma_f64 v[211:212], v[161:162], s[18:19], -v[209:210]
	v_fma_f64 v[223:224], v[151:152], s[4:5], -v[203:204]
	v_mul_f64 v[207:208], v[171:172], s[10:11]
	v_add_f64 v[76:77], v[215:216], v[76:77]
	v_fma_f64 v[215:216], v[139:140], s[34:35], v[82:83]
	v_fma_f64 v[82:83], v[133:134], s[18:19], -v[86:87]
	v_fma_f64 v[86:87], v[98:99], s[18:19], v[193:194]
	v_mul_f64 v[193:194], v[121:122], s[30:31]
	v_add_f64 v[199:200], v[225:226], v[199:200]
	v_add_f64 v[84:85], v[189:190], v[84:85]
	v_fma_f64 v[189:190], v[161:162], s[18:19], v[209:210]
	v_add_f64 v[181:182], v[197:198], v[181:182]
	v_mul_f64 v[225:226], v[163:164], s[54:55]
	v_fma_f64 v[229:230], v[141:142], s[18:19], -v[217:218]
	v_add_f64 v[80:81], v[175:176], v[80:81]
	v_mul_f64 v[209:210], v[131:132], s[30:31]
	v_add_f64 v[173:174], v[213:214], v[173:174]
	v_mul_f64 v[213:214], v[96:97], s[40:41]
	v_add_f64 v[58:59], v[58:59], v[42:43]
	v_fma_f64 v[175:176], v[92:93], s[4:5], v[191:192]
	v_add_f64 v[183:184], v[195:196], v[183:184]
	v_add_f64 v[187:188], v[187:188], v[201:202]
	v_mul_f64 v[201:202], v[127:128], s[8:9]
	v_add_f64 v[219:220], v[223:224], v[219:220]
	v_fma_f64 v[223:224], v[143:144], s[16:17], -v[185:186]
	v_add_f64 v[76:77], v[211:212], v[76:77]
	v_fma_f64 v[195:196], v[139:140], s[4:5], -v[207:208]
	v_fma_f64 v[191:192], v[92:93], s[4:5], -v[191:192]
	v_fma_f64 v[185:186], v[143:144], s[16:17], v[185:186]
	v_fma_f64 v[211:212], v[123:124], s[16:17], v[193:194]
	v_add_f64 v[199:200], v[221:222], v[199:200]
	v_mul_f64 v[221:222], v[165:166], s[40:41]
	v_fma_f64 v[227:228], v[155:156], s[38:39], v[227:228]
	v_fma_f64 v[193:194], v[123:124], s[16:17], -v[193:194]
	v_fma_f64 v[231:232], v[149:150], s[16:17], -v[225:226]
	s_mov_b32 s55, 0x3fc7851a
	s_mov_b32 s54, s8
	v_fma_f64 v[233:234], v[125:126], s[16:17], -v[209:210]
	v_add_f64 v[86:87], v[86:87], v[173:174]
	v_mul_f64 v[173:174], v[94:95], s[20:21]
	v_add_f64 v[54:55], v[54:55], v[58:59]
	v_fma_f64 v[209:210], v[125:126], s[16:17], v[209:210]
	v_add_f64 v[187:188], v[189:190], v[187:188]
	v_fma_f64 v[189:190], v[137:138], s[18:19], v[201:202]
	v_add_f64 v[219:220], v[229:230], v[219:220]
	v_fma_f64 v[229:230], v[133:134], s[26:27], -v[213:214]
	v_fma_f64 v[201:202], v[137:138], s[18:19], -v[201:202]
	v_add_f64 v[76:77], v[195:196], v[76:77]
	v_mul_f64 v[195:196], v[171:172], s[20:21]
	v_add_f64 v[197:198], v[42:43], v[211:212]
	v_add_f64 v[199:200], v[223:224], v[199:200]
	;; [unrolled: 1-line block ×4, first 2 shown]
	v_fma_f64 v[205:206], v[139:140], s[4:5], v[207:208]
	v_mul_f64 v[207:208], v[129:130], s[8:9]
	v_add_f64 v[80:81], v[215:216], v[84:85]
	v_add_f64 v[78:79], v[175:176], v[183:184]
	v_mul_f64 v[183:184], v[153:154], s[44:45]
	v_fma_f64 v[175:176], v[133:134], s[26:27], v[213:214]
	v_add_f64 v[185:186], v[185:186], v[86:87]
	v_fma_f64 v[211:212], v[161:162], s[26:27], -v[221:222]
	v_fma_f64 v[215:216], v[92:93], s[22:23], -v[173:174]
	v_add_f64 v[181:182], v[227:228], v[181:182]
	v_mul_f64 v[227:228], v[131:132], s[50:51]
	v_add_f64 v[50:51], v[50:51], v[54:55]
	v_add_f64 v[213:214], v[231:232], v[219:220]
	;; [unrolled: 1-line block ×3, first 2 shown]
	v_fma_f64 v[173:174], v[92:93], s[22:23], v[173:174]
	v_fma_f64 v[231:232], v[139:140], s[22:23], -v[195:196]
	v_add_f64 v[189:190], v[189:190], v[197:198]
	v_add_f64 v[197:198], v[56:57], v[40:41]
	;; [unrolled: 1-line block ×4, first 2 shown]
	v_fma_f64 v[191:192], v[151:152], s[4:5], v[203:204]
	v_mul_f64 v[203:204], v[157:158], s[44:45]
	v_fma_f64 v[219:220], v[159:160], s[18:19], -v[207:208]
	v_mul_f64 v[223:224], v[121:122], s[50:51]
	v_add_f64 v[229:230], v[40:41], v[233:234]
	v_add_f64 v[84:85], v[205:206], v[187:188]
	v_mul_f64 v[187:188], v[135:136], s[28:29]
	v_fma_f64 v[205:206], v[147:148], s[34:35], v[183:184]
	v_add_f64 v[175:176], v[175:176], v[185:186]
	v_mul_f64 v[185:186], v[169:170], s[28:29]
	v_mul_f64 v[233:234], v[129:130], s[20:21]
	v_fma_f64 v[235:236], v[125:126], s[4:5], -v[227:228]
	v_add_f64 v[211:212], v[211:212], v[213:214]
	v_add_f64 v[46:47], v[46:47], v[50:51]
	v_fma_f64 v[183:184], v[147:148], s[34:35], -v[183:184]
	v_add_f64 v[193:194], v[201:202], v[193:194]
	v_mul_f64 v[201:202], v[167:168], s[50:51]
	v_fma_f64 v[58:59], v[159:160], s[18:19], v[207:208]
	v_add_f64 v[207:208], v[40:41], v[209:210]
	v_add_f64 v[52:53], v[52:53], v[197:198]
	;; [unrolled: 1-line block ×3, first 2 shown]
	v_fma_f64 v[199:200], v[141:142], s[18:19], v[217:218]
	v_mul_f64 v[215:216], v[127:128], s[20:21]
	v_fma_f64 v[213:214], v[155:156], s[34:35], -v[203:204]
	v_add_f64 v[181:182], v[191:192], v[181:182]
	v_fma_f64 v[217:218], v[123:124], s[4:5], v[223:224]
	v_add_f64 v[219:220], v[219:220], v[229:230]
	v_fma_f64 v[191:192], v[149:150], s[16:17], v[225:226]
	v_mul_f64 v[225:226], v[119:120], s[50:51]
	v_fma_f64 v[229:230], v[145:146], s[26:27], v[187:188]
	v_add_f64 v[189:190], v[205:206], v[189:190]
	v_fma_f64 v[205:206], v[151:152], s[26:27], -v[185:186]
	v_fma_f64 v[197:198], v[123:124], s[4:5], -v[223:224]
	v_mul_f64 v[209:210], v[153:154], s[54:55]
	v_fma_f64 v[237:238], v[159:160], s[22:23], -v[233:234]
	v_add_f64 v[235:236], v[40:41], v[235:236]
	v_add_f64 v[22:23], v[22:23], v[46:47]
	v_fma_f64 v[187:188], v[145:146], s[26:27], -v[187:188]
	v_add_f64 v[183:184], v[183:184], v[193:194]
	v_fma_f64 v[203:204], v[155:156], s[34:35], v[203:204]
	v_add_f64 v[58:59], v[58:59], v[207:208]
	v_add_f64 v[48:49], v[48:49], v[52:53]
	v_fma_f64 v[52:53], v[141:142], s[4:5], -v[201:202]
	v_mul_f64 v[207:208], v[135:136], s[44:45]
	v_fma_f64 v[223:224], v[137:138], s[22:23], v[215:216]
	v_fma_f64 v[54:55], v[137:138], s[22:23], -v[215:216]
	v_add_f64 v[181:182], v[199:200], v[181:182]
	v_add_f64 v[217:218], v[42:43], v[217:218]
	;; [unrolled: 1-line block ×3, first 2 shown]
	v_fma_f64 v[199:200], v[161:162], s[26:27], v[221:222]
	v_mul_f64 v[221:222], v[157:158], s[54:55]
	v_mul_f64 v[219:220], v[117:118], s[14:15]
	v_fma_f64 v[193:194], v[98:99], s[4:5], v[225:226]
	v_add_f64 v[189:190], v[229:230], v[189:190]
	v_mul_f64 v[229:230], v[163:164], s[14:15]
	v_add_f64 v[197:198], v[42:43], v[197:198]
	v_fma_f64 v[215:216], v[147:148], s[18:19], v[209:210]
	v_add_f64 v[235:236], v[237:238], v[235:236]
	v_add_f64 v[22:23], v[62:63], v[22:23]
	v_fma_f64 v[50:51], v[147:148], s[18:19], -v[209:210]
	v_add_f64 v[183:184], v[187:188], v[183:184]
	v_fma_f64 v[185:186], v[151:152], s[26:27], v[185:186]
	v_add_f64 v[58:59], v[203:204], v[58:59]
	v_add_f64 v[44:45], v[44:45], v[48:49]
	v_fma_f64 v[203:204], v[145:146], s[34:35], v[207:208]
	v_fma_f64 v[46:47], v[145:146], s[34:35], -v[207:208]
	v_add_f64 v[181:182], v[191:192], v[181:182]
	v_add_f64 v[217:218], v[223:224], v[217:218]
	v_add_f64 v[205:206], v[205:206], v[213:214]
	v_fma_f64 v[213:214], v[125:126], s[4:5], v[227:228]
	v_fma_f64 v[223:224], v[98:99], s[4:5], -v[225:226]
	v_mul_f64 v[225:226], v[169:170], s[44:45]
	v_fma_f64 v[227:228], v[155:156], s[18:19], -v[221:222]
	v_fma_f64 v[187:188], v[143:144], s[24:25], v[219:220]
	v_add_f64 v[189:190], v[193:194], v[189:190]
	v_mul_f64 v[193:194], v[165:166], s[46:47]
	v_fma_f64 v[48:49], v[149:150], s[24:25], -v[229:230]
	v_add_f64 v[54:55], v[54:55], v[197:198]
	v_mul_f64 v[197:198], v[119:120], s[42:43]
	v_add_f64 v[22:23], v[102:103], v[22:23]
	v_mul_f64 v[191:192], v[96:97], s[46:47]
	v_mul_f64 v[102:103], v[131:132], s[52:53]
	v_add_f64 v[58:59], v[185:186], v[58:59]
	v_add_f64 v[20:21], v[20:21], v[44:45]
	v_mul_f64 v[185:186], v[117:118], s[40:41]
	v_add_f64 v[181:182], v[199:200], v[181:182]
	v_add_f64 v[209:210], v[215:216], v[217:218]
	;; [unrolled: 1-line block ×3, first 2 shown]
	v_fma_f64 v[215:216], v[159:160], s[22:23], v[233:234]
	v_add_f64 v[213:214], v[40:41], v[213:214]
	v_fma_f64 v[217:218], v[143:144], s[24:25], -v[219:220]
	v_mul_f64 v[219:220], v[167:168], s[42:43]
	v_fma_f64 v[233:234], v[151:152], s[34:35], -v[225:226]
	v_add_f64 v[227:228], v[227:228], v[235:236]
	v_add_f64 v[183:184], v[223:224], v[183:184]
	v_fma_f64 v[44:45], v[161:162], s[22:23], -v[193:194]
	v_add_f64 v[50:51], v[50:51], v[54:55]
	v_fma_f64 v[54:55], v[141:142], s[4:5], v[201:202]
	v_fma_f64 v[201:202], v[98:99], s[38:39], v[197:198]
	v_add_f64 v[22:23], v[110:111], v[22:23]
	v_fma_f64 v[223:224], v[133:134], s[22:23], v[191:192]
	v_fma_f64 v[191:192], v[133:134], s[22:23], -v[191:192]
	v_add_f64 v[20:21], v[60:61], v[20:21]
	v_fma_f64 v[62:63], v[98:99], s[38:39], -v[197:198]
	v_fma_f64 v[197:198], v[143:144], s[26:27], v[185:186]
	v_add_f64 v[187:188], v[187:188], v[189:190]
	v_fma_f64 v[185:186], v[143:144], s[26:27], -v[185:186]
	v_fma_f64 v[110:111], v[125:126], s[38:39], v[102:103]
	v_add_f64 v[203:204], v[203:204], v[209:210]
	v_add_f64 v[48:49], v[48:49], v[52:53]
	v_fma_f64 v[52:53], v[139:140], s[22:23], v[195:196]
	v_fma_f64 v[195:196], v[155:156], s[18:19], v[221:222]
	v_add_f64 v[207:208], v[215:216], v[213:214]
	v_mul_f64 v[209:210], v[163:164], s[40:41]
	v_fma_f64 v[213:214], v[141:142], s[38:39], -v[219:220]
	v_add_f64 v[215:216], v[233:234], v[227:228]
	v_add_f64 v[183:184], v[217:218], v[183:184]
	v_fma_f64 v[102:103], v[125:126], s[38:39], -v[102:103]
	v_add_f64 v[46:47], v[46:47], v[50:51]
	v_fma_f64 v[50:51], v[149:150], s[24:25], v[229:230]
	v_add_f64 v[54:55], v[54:55], v[58:59]
	v_add_f64 v[22:23], v[114:115], v[22:23]
	v_mul_f64 v[58:59], v[96:97], s[30:31]
	v_mul_f64 v[205:206], v[94:95], s[42:43]
	v_add_f64 v[20:21], v[100:101], v[20:21]
	v_mul_f64 v[100:101], v[131:132], s[40:41]
	v_mul_f64 v[189:190], v[171:172], s[42:43]
	v_add_f64 v[187:188], v[223:224], v[187:188]
	v_mul_f64 v[223:224], v[157:158], s[20:21]
	v_add_f64 v[110:111], v[40:41], v[110:111]
	v_add_f64 v[201:202], v[201:202], v[203:204]
	;; [unrolled: 1-line block ×3, first 2 shown]
	v_mul_f64 v[48:49], v[121:122], s[52:53]
	v_fma_f64 v[203:204], v[151:152], s[34:35], v[225:226]
	v_add_f64 v[195:196], v[195:196], v[207:208]
	v_fma_f64 v[217:218], v[149:150], s[26:27], -v[209:210]
	v_mul_f64 v[121:122], v[121:122], s[40:41]
	v_add_f64 v[213:214], v[213:214], v[215:216]
	v_mul_f64 v[207:208], v[165:166], s[30:31]
	v_add_f64 v[183:184], v[191:192], v[183:184]
	v_add_f64 v[46:47], v[62:63], v[46:47]
	v_fma_f64 v[62:63], v[161:162], s[22:23], v[193:194]
	v_mul_f64 v[193:194], v[127:128], s[30:31]
	v_mul_f64 v[127:128], v[127:128], s[52:53]
	v_add_f64 v[22:23], v[106:107], v[22:23]
	v_add_f64 v[102:103], v[40:41], v[102:103]
	;; [unrolled: 1-line block ×3, first 2 shown]
	v_fma_f64 v[108:109], v[125:126], s[26:27], v[100:101]
	v_fma_f64 v[100:101], v[125:126], s[26:27], -v[100:101]
	v_mul_f64 v[125:126], v[157:158], s[50:51]
	v_add_f64 v[50:51], v[50:51], v[54:55]
	v_mul_f64 v[54:55], v[94:95], s[14:15]
	v_add_f64 v[191:192], v[197:198], v[201:202]
	v_fma_f64 v[201:202], v[141:142], s[38:39], v[219:220]
	v_fma_f64 v[197:198], v[123:124], s[38:39], -v[48:49]
	v_fma_f64 v[48:49], v[123:124], s[38:39], v[48:49]
	v_add_f64 v[195:196], v[203:204], v[195:196]
	v_mul_f64 v[203:204], v[129:130], s[30:31]
	v_mul_f64 v[129:130], v[129:130], s[52:53]
	v_add_f64 v[213:214], v[217:218], v[213:214]
	v_fma_f64 v[217:218], v[123:124], s[26:27], -v[121:122]
	v_fma_f64 v[219:220], v[161:162], s[16:17], -v[207:208]
	v_add_f64 v[46:47], v[185:186], v[46:47]
	v_fma_f64 v[185:186], v[161:162], s[16:17], v[207:208]
	v_fma_f64 v[207:208], v[149:150], s[26:27], v[209:210]
	v_mul_f64 v[209:210], v[153:154], s[20:21]
	v_fma_f64 v[221:222], v[137:138], s[16:17], -v[193:194]
	v_fma_f64 v[121:122], v[123:124], s[26:27], v[121:122]
	v_add_f64 v[20:21], v[112:113], v[20:21]
	v_mul_f64 v[123:124], v[153:154], s[50:51]
	v_fma_f64 v[153:154], v[137:138], s[38:39], -v[127:128]
	v_add_f64 v[108:109], v[40:41], v[108:109]
	v_add_f64 v[22:23], v[90:91], v[22:23]
	v_mul_f64 v[112:113], v[135:136], s[8:9]
	v_fma_f64 v[114:115], v[137:138], s[16:17], v[193:194]
	v_mul_f64 v[193:194], v[169:170], s[8:9]
	v_add_f64 v[197:198], v[42:43], v[197:198]
	v_add_f64 v[48:49], v[42:43], v[48:49]
	;; [unrolled: 1-line block ×3, first 2 shown]
	v_fma_f64 v[201:202], v[159:160], s[16:17], v[203:204]
	v_fma_f64 v[203:204], v[159:160], s[16:17], -v[203:204]
	v_mul_f64 v[135:136], v[135:136], s[30:31]
	v_add_f64 v[157:158], v[42:43], v[217:218]
	v_fma_f64 v[217:218], v[159:160], s[38:39], v[129:130]
	v_fma_f64 v[127:128], v[137:138], s[38:39], v[127:128]
	v_add_f64 v[40:41], v[40:41], v[100:101]
	v_mul_f64 v[100:101], v[169:170], s[30:31]
	v_fma_f64 v[225:226], v[147:148], s[22:23], -v[209:210]
	v_fma_f64 v[131:132], v[133:134], s[16:17], v[58:59]
	v_add_f64 v[42:43], v[42:43], v[121:122]
	v_add_f64 v[20:21], v[104:105], v[20:21]
	v_fma_f64 v[121:122], v[159:160], s[38:39], -v[129:130]
	v_fma_f64 v[129:130], v[147:148], s[4:5], -v[123:124]
	v_fma_f64 v[123:124], v[147:148], s[4:5], v[123:124]
	v_add_f64 v[22:23], v[26:27], v[22:23]
	v_fma_f64 v[159:160], v[145:146], s[18:19], -v[112:113]
	v_fma_f64 v[58:59], v[133:134], s[16:17], -v[58:59]
	v_mul_f64 v[215:216], v[171:172], s[14:15]
	v_add_f64 v[197:198], v[221:222], v[197:198]
	v_fma_f64 v[221:222], v[155:156], s[22:23], v[223:224]
	v_add_f64 v[48:49], v[114:115], v[48:49]
	v_add_f64 v[106:107], v[201:202], v[110:111]
	;; [unrolled: 1-line block ×3, first 2 shown]
	v_fma_f64 v[110:111], v[147:148], s[22:23], v[209:210]
	v_add_f64 v[137:138], v[153:154], v[157:158]
	v_fma_f64 v[153:154], v[155:156], s[4:5], v[125:126]
	v_add_f64 v[104:105], v[217:218], v[108:109]
	v_fma_f64 v[157:158], v[155:156], s[22:23], -v[223:224]
	v_mul_f64 v[108:109], v[119:120], s[48:49]
	v_mul_f64 v[114:115], v[167:168], s[48:49]
	;; [unrolled: 1-line block ×3, first 2 shown]
	v_add_f64 v[42:43], v[127:128], v[42:43]
	v_add_f64 v[20:21], v[88:89], v[20:21]
	v_fma_f64 v[125:126], v[155:156], s[4:5], -v[125:126]
	v_add_f64 v[40:41], v[121:122], v[40:41]
	v_mul_f64 v[121:122], v[167:168], s[36:37]
	v_fma_f64 v[127:128], v[145:146], s[16:17], -v[135:136]
	v_add_f64 v[14:15], v[14:15], v[22:23]
	v_fma_f64 v[135:136], v[145:146], s[16:17], v[135:136]
	v_add_f64 v[46:47], v[58:59], v[46:47]
	v_add_f64 v[169:170], v[225:226], v[197:198]
	v_fma_f64 v[197:198], v[151:152], s[18:19], v[193:194]
	v_fma_f64 v[58:59], v[139:140], s[24:25], v[215:216]
	v_add_f64 v[90:91], v[221:222], v[106:107]
	v_fma_f64 v[106:107], v[145:146], s[18:19], v[112:113]
	v_fma_f64 v[112:113], v[151:152], s[18:19], -v[193:194]
	v_add_f64 v[129:130], v[129:130], v[137:138]
	v_fma_f64 v[137:138], v[151:152], s[16:17], v[100:101]
	v_add_f64 v[88:89], v[153:154], v[104:105]
	v_add_f64 v[102:103], v[157:158], v[102:103]
	v_mul_f64 v[104:105], v[117:118], s[44:45]
	v_add_f64 v[48:49], v[110:111], v[48:49]
	v_mul_f64 v[110:111], v[163:164], s[44:45]
	v_fma_f64 v[147:148], v[98:99], s[24:25], -v[108:109]
	v_add_f64 v[20:21], v[24:25], v[20:21]
	v_fma_f64 v[155:156], v[141:142], s[24:25], v[114:115]
	v_add_f64 v[42:43], v[123:124], v[42:43]
	v_add_f64 v[40:41], v[125:126], v[40:41]
	v_mul_f64 v[123:124], v[163:164], s[20:21]
	v_fma_f64 v[125:126], v[98:99], s[34:35], -v[119:120]
	v_add_f64 v[10:11], v[14:15], v[10:11]
	v_fma_f64 v[100:101], v[151:152], s[16:17], -v[100:101]
	v_add_f64 v[153:154], v[159:160], v[169:170]
	v_mul_f64 v[117:118], v[117:118], s[20:21]
	v_fma_f64 v[199:200], v[92:93], s[38:39], v[205:206]
	v_add_f64 v[26:27], v[197:198], v[90:91]
	v_fma_f64 v[90:91], v[98:99], s[24:25], v[108:109]
	v_fma_f64 v[108:109], v[141:142], s[24:25], -v[114:115]
	v_add_f64 v[127:128], v[127:128], v[129:130]
	v_fma_f64 v[129:130], v[141:142], s[34:35], v[121:122]
	v_add_f64 v[24:25], v[137:138], v[88:89]
	v_add_f64 v[102:103], v[112:113], v[102:103]
	v_fma_f64 v[112:113], v[143:144], s[34:35], -v[104:105]
	v_add_f64 v[48:49], v[106:107], v[48:49]
	v_fma_f64 v[98:99], v[98:99], s[34:35], v[119:120]
	v_fma_f64 v[119:120], v[141:142], s[34:35], -v[121:122]
	v_add_f64 v[12:13], v[12:13], v[20:21]
	v_mul_f64 v[88:89], v[96:97], s[10:11]
	v_add_f64 v[42:43], v[135:136], v[42:43]
	v_mul_f64 v[96:97], v[96:97], s[14:15]
	v_mul_f64 v[106:107], v[165:166], s[10:11]
	v_fma_f64 v[137:138], v[149:150], s[34:35], v[110:111]
	v_add_f64 v[6:7], v[10:11], v[6:7]
	v_add_f64 v[40:41], v[100:101], v[40:41]
	;; [unrolled: 1-line block ×3, first 2 shown]
	v_mul_f64 v[100:101], v[165:166], s[14:15]
	v_fma_f64 v[121:122], v[143:144], s[22:23], -v[117:118]
	v_add_f64 v[22:23], v[155:156], v[26:27]
	v_fma_f64 v[26:27], v[143:144], s[34:35], v[104:105]
	v_fma_f64 v[104:105], v[149:150], s[34:35], -v[110:111]
	v_add_f64 v[125:126], v[125:126], v[127:128]
	v_fma_f64 v[127:128], v[149:150], s[22:23], v[123:124]
	v_add_f64 v[20:21], v[129:130], v[24:25]
	v_mul_f64 v[24:25], v[94:95], s[28:29]
	v_add_f64 v[102:103], v[108:109], v[102:103]
	v_add_f64 v[48:49], v[90:91], v[48:49]
	v_mul_f64 v[94:95], v[94:95], s[8:9]
	v_mul_f64 v[90:91], v[171:172], s[28:29]
	v_add_f64 v[8:9], v[8:9], v[12:13]
	v_fma_f64 v[108:109], v[133:134], s[4:5], -v[88:89]
	v_add_f64 v[42:43], v[98:99], v[42:43]
	v_fma_f64 v[98:99], v[149:150], s[22:23], -v[123:124]
	v_fma_f64 v[88:89], v[133:134], s[4:5], v[88:89]
	v_fma_f64 v[60:61], v[139:140], s[38:39], -v[189:190]
	v_fma_f64 v[205:206], v[92:93], s[38:39], -v[205:206]
	v_add_f64 v[40:41], v[119:120], v[40:41]
	v_add_f64 v[110:111], v[112:113], v[114:115]
	v_fma_f64 v[114:115], v[143:144], s[22:23], v[117:118]
	v_mul_f64 v[117:118], v[171:172], s[8:9]
	v_fma_f64 v[119:120], v[133:134], s[24:25], -v[96:97]
	v_fma_f64 v[123:124], v[161:162], s[24:25], v[100:101]
	v_fma_f64 v[112:113], v[161:162], s[4:5], v[106:107]
	v_add_f64 v[121:122], v[121:122], v[125:126]
	v_add_f64 v[14:15], v[137:138], v[22:23]
	;; [unrolled: 1-line block ×3, first 2 shown]
	v_fma_f64 v[127:128], v[92:93], s[26:27], v[24:25]
	v_add_f64 v[102:103], v[104:105], v[102:103]
	v_fma_f64 v[104:105], v[92:93], s[26:27], -v[24:25]
	v_add_f64 v[20:21], v[207:208], v[195:196]
	v_add_f64 v[26:27], v[26:27], v[48:49]
	;; [unrolled: 1-line block ×3, first 2 shown]
	v_fma_f64 v[48:49], v[161:162], s[4:5], -v[106:107]
	v_fma_f64 v[96:97], v[133:134], s[24:25], v[96:97]
	v_fma_f64 v[100:101], v[161:162], s[24:25], -v[100:101]
	v_fma_f64 v[22:23], v[92:93], s[24:25], -v[54:55]
	v_fma_f64 v[189:190], v[139:140], s[38:39], v[189:190]
	v_add_f64 v[50:51], v[62:63], v[50:51]
	v_add_f64 v[40:41], v[98:99], v[40:41]
	;; [unrolled: 1-line block ×4, first 2 shown]
	v_fma_f64 v[108:109], v[92:93], s[18:19], -v[94:95]
	v_fma_f64 v[114:115], v[139:140], s[18:19], v[117:118]
	v_fma_f64 v[98:99], v[139:140], s[26:27], v[90:91]
	;; [unrolled: 1-line block ×3, first 2 shown]
	v_add_f64 v[110:111], v[119:120], v[121:122]
	v_add_f64 v[14:15], v[112:113], v[14:15]
	v_add_f64 v[119:120], v[123:124], v[12:13]
	v_add_f64 v[121:122], v[131:132], v[191:192]
	v_fma_f64 v[123:124], v[139:140], s[24:25], -v[215:216]
	v_add_f64 v[125:126], v[219:220], v[213:214]
	v_add_f64 v[112:113], v[185:186], v[20:21]
	;; [unrolled: 1-line block ×4, first 2 shown]
	buffer_load_dword v1, off, s[56:59], 0 offset:4 ; 4-byte Folded Reload
	v_fma_f64 v[90:91], v[139:140], s[26:27], -v[90:91]
	v_add_f64 v[102:103], v[48:49], v[102:103]
	v_fma_f64 v[92:93], v[92:93], s[18:19], v[94:95]
	v_add_f64 v[26:27], v[6:7], v[2:3]
	v_add_f64 v[8:9], v[22:23], v[46:47]
	;; [unrolled: 1-line block ×5, first 2 shown]
	v_fma_f64 v[96:97], v[139:140], s[18:19], -v[117:118]
	v_add_f64 v[4:5], v[205:206], v[183:184]
	v_add_f64 v[2:3], v[189:190], v[50:51]
	;; [unrolled: 1-line block ×8, first 2 shown]
	v_and_b32_e32 v0, 0xffff, v178
	v_add_f64 v[6:7], v[58:59], v[112:113]
	v_add_f64 v[46:47], v[199:200], v[187:188]
	;; [unrolled: 1-line block ×9, first 2 shown]
	s_waitcnt vmcnt(0)
	v_lshl_add_u32 v0, v0, 4, v1
	ds_write_b128 v0, v[24:27]
	ds_write_b128 v0, v[20:23] offset:16
	ds_write_b128 v0, v[10:13] offset:32
	;; [unrolled: 1-line block ×16, first 2 shown]
.LBB0_13:
	s_or_b32 exec_lo, exec_lo, s33
	s_waitcnt lgkmcnt(0)
	s_barrier
	buffer_gl0_inv
	ds_read_b128 v[0:3], v179 offset:272
	ds_read_b128 v[4:7], v179 offset:544
	;; [unrolled: 1-line block ×4, first 2 shown]
	s_mov_b32 s4, 0x134454ff
	s_mov_b32 s5, 0xbfee6f0e
	;; [unrolled: 1-line block ×4, first 2 shown]
	s_waitcnt lgkmcnt(3)
	v_mul_f64 v[20:21], v[38:39], v[2:3]
	s_waitcnt lgkmcnt(2)
	v_mul_f64 v[22:23], v[34:35], v[6:7]
	;; [unrolled: 2-line block ×3, first 2 shown]
	v_mul_f64 v[26:27], v[38:39], v[0:1]
	s_waitcnt lgkmcnt(0)
	v_mul_f64 v[38:39], v[18:19], v[14:15]
	v_mul_f64 v[34:35], v[34:35], v[4:5]
	;; [unrolled: 1-line block ×4, first 2 shown]
	v_fma_f64 v[20:21], v[36:37], v[0:1], v[20:21]
	v_fma_f64 v[4:5], v[32:33], v[4:5], v[22:23]
	;; [unrolled: 1-line block ×3, first 2 shown]
	v_fma_f64 v[22:23], v[36:37], v[2:3], -v[26:27]
	v_fma_f64 v[12:13], v[16:17], v[12:13], v[38:39]
	v_fma_f64 v[6:7], v[32:33], v[6:7], -v[34:35]
	v_fma_f64 v[10:11], v[28:29], v[10:11], -v[30:31]
	v_fma_f64 v[14:15], v[16:17], v[14:15], -v[18:19]
	ds_read_b128 v[0:3], v179
	v_add_f64 v[16:17], v[4:5], v[8:9]
	v_add_f64 v[18:19], v[20:21], v[12:13]
	v_add_f64 v[36:37], v[20:21], -v[12:13]
	v_add_f64 v[24:25], v[6:7], v[10:11]
	v_add_f64 v[26:27], v[22:23], v[14:15]
	s_waitcnt lgkmcnt(0)
	v_add_f64 v[28:29], v[0:1], v[20:21]
	v_add_f64 v[34:35], v[2:3], v[22:23]
	v_add_f64 v[30:31], v[22:23], -v[14:15]
	v_add_f64 v[32:33], v[6:7], -v[10:11]
	;; [unrolled: 1-line block ×8, first 2 shown]
	v_fma_f64 v[16:17], v[16:17], -0.5, v[0:1]
	v_fma_f64 v[0:1], v[18:19], -0.5, v[0:1]
	v_add_f64 v[18:19], v[4:5], -v[8:9]
	v_fma_f64 v[24:25], v[24:25], -0.5, v[2:3]
	v_fma_f64 v[2:3], v[26:27], -0.5, v[2:3]
	v_add_f64 v[26:27], v[20:21], -v[4:5]
	v_add_f64 v[20:21], v[4:5], -v[20:21]
	v_add_f64 v[4:5], v[28:29], v[4:5]
	v_add_f64 v[6:7], v[34:35], v[6:7]
	;; [unrolled: 1-line block ×3, first 2 shown]
	v_fma_f64 v[28:29], v[30:31], s[4:5], v[16:17]
	v_fma_f64 v[16:17], v[30:31], s[8:9], v[16:17]
	;; [unrolled: 1-line block ×8, first 2 shown]
	s_mov_b32 s4, 0x4755a5e
	s_mov_b32 s5, 0xbfe2cf23
	;; [unrolled: 1-line block ×4, first 2 shown]
	v_add_f64 v[4:5], v[4:5], v[8:9]
	v_add_f64 v[6:7], v[6:7], v[10:11]
	v_add_f64 v[26:27], v[26:27], v[38:39]
	v_add_f64 v[38:39], v[42:43], v[44:45]
	v_add_f64 v[20:21], v[20:21], v[40:41]
	v_fma_f64 v[8:9], v[32:33], s[4:5], v[28:29]
	v_fma_f64 v[10:11], v[32:33], s[8:9], v[16:17]
	;; [unrolled: 1-line block ×8, first 2 shown]
	s_mov_b32 s4, 0x372fe950
	s_mov_b32 s5, 0x3fd3c6ef
	v_add_f64 v[0:1], v[4:5], v[12:13]
	v_add_f64 v[2:3], v[6:7], v[14:15]
	v_fma_f64 v[4:5], v[26:27], s[4:5], v[8:9]
	v_fma_f64 v[8:9], v[26:27], s[4:5], v[10:11]
	;; [unrolled: 1-line block ×8, first 2 shown]
	ds_write_b128 v180, v[0:3]
	ds_write_b128 v180, v[4:7] offset:272
	ds_write_b128 v180, v[12:15] offset:544
	;; [unrolled: 1-line block ×4, first 2 shown]
	s_waitcnt lgkmcnt(0)
	s_barrier
	buffer_gl0_inv
	s_and_b32 exec_lo, exec_lo, vcc_lo
	s_cbranch_execz .LBB0_15
; %bb.14:
	buffer_load_dword v0, off, s[56:59], 0  ; 4-byte Folded Reload
	global_load_dwordx4 v[3:6], v255, s[6:7]
	ds_read_b128 v[7:10], v180
	v_mad_u64_u32 v[15:16], null, s2, v116, 0
	s_mul_i32 s4, s1, 0x50
	s_mul_hi_u32 s8, s0, 0x50
	s_mul_i32 s5, s0, 0x50
	s_add_i32 s4, s8, s4
	s_waitcnt vmcnt(1)
	v_lshl_add_u32 v2, v0, 4, v255
	ds_read_b128 v[11:14], v2 offset:80
	s_waitcnt vmcnt(0) lgkmcnt(1)
	v_mul_f64 v[0:1], v[9:10], v[5:6]
	v_mul_f64 v[5:6], v[7:8], v[5:6]
	v_fma_f64 v[0:1], v[7:8], v[3:4], v[0:1]
	v_fma_f64 v[5:6], v[3:4], v[9:10], -v[5:6]
	v_mad_u64_u32 v[7:8], null, s0, v177, 0
	v_mov_b32_e32 v3, v16
	v_mov_b32_e32 v4, v8
	v_mad_u64_u32 v[8:9], null, s3, v116, v[3:4]
	s_mov_b32 s2, 0x18181818
	s_mov_b32 s3, 0x3f881818
	v_mov_b32_e32 v16, v8
	v_mad_u64_u32 v[9:10], null, s1, v177, v[4:5]
	v_mul_f64 v[3:4], v[0:1], s[2:3]
	v_mul_f64 v[5:6], v[5:6], s[2:3]
	v_lshlrev_b64 v[0:1], 4, v[15:16]
	v_mov_b32_e32 v8, v9
	v_add_co_u32 v0, vcc_lo, s12, v0
	v_add_co_ci_u32_e32 v1, vcc_lo, s13, v1, vcc_lo
	v_lshlrev_b64 v[7:8], 4, v[7:8]
	v_add_co_u32 v7, vcc_lo, v0, v7
	v_add_co_ci_u32_e32 v8, vcc_lo, v1, v8, vcc_lo
	v_add_co_u32 v15, vcc_lo, v7, s5
	global_store_dwordx4 v[7:8], v[3:6], off
	global_load_dwordx4 v[3:6], v255, s[6:7] offset:80
	v_add_co_ci_u32_e32 v16, vcc_lo, s4, v8, vcc_lo
	s_waitcnt vmcnt(0) lgkmcnt(0)
	v_mul_f64 v[9:10], v[13:14], v[5:6]
	v_mul_f64 v[5:6], v[11:12], v[5:6]
	v_fma_f64 v[9:10], v[11:12], v[3:4], v[9:10]
	v_fma_f64 v[5:6], v[3:4], v[13:14], -v[5:6]
	v_mul_f64 v[3:4], v[9:10], s[2:3]
	v_mul_f64 v[5:6], v[5:6], s[2:3]
	global_store_dwordx4 v[15:16], v[3:6], off
	global_load_dwordx4 v[3:6], v255, s[6:7] offset:160
	ds_read_b128 v[7:10], v2 offset:160
	ds_read_b128 v[11:14], v2 offset:240
	s_waitcnt vmcnt(0) lgkmcnt(1)
	v_mul_f64 v[17:18], v[9:10], v[5:6]
	v_mul_f64 v[5:6], v[7:8], v[5:6]
	v_fma_f64 v[7:8], v[7:8], v[3:4], v[17:18]
	v_fma_f64 v[5:6], v[3:4], v[9:10], -v[5:6]
	v_mul_f64 v[3:4], v[7:8], s[2:3]
	v_mul_f64 v[5:6], v[5:6], s[2:3]
	v_add_co_u32 v7, vcc_lo, v15, s5
	v_add_co_ci_u32_e32 v8, vcc_lo, s4, v16, vcc_lo
	v_add_co_u32 v15, vcc_lo, v7, s5
	v_add_co_ci_u32_e32 v16, vcc_lo, s4, v8, vcc_lo
	global_store_dwordx4 v[7:8], v[3:6], off
	global_load_dwordx4 v[3:6], v255, s[6:7] offset:240
	s_waitcnt vmcnt(0) lgkmcnt(0)
	v_mul_f64 v[9:10], v[13:14], v[5:6]
	v_mul_f64 v[5:6], v[11:12], v[5:6]
	v_fma_f64 v[9:10], v[11:12], v[3:4], v[9:10]
	v_fma_f64 v[5:6], v[3:4], v[13:14], -v[5:6]
	v_mul_f64 v[3:4], v[9:10], s[2:3]
	v_mul_f64 v[5:6], v[5:6], s[2:3]
	global_store_dwordx4 v[15:16], v[3:6], off
	global_load_dwordx4 v[3:6], v255, s[6:7] offset:320
	ds_read_b128 v[7:10], v2 offset:320
	ds_read_b128 v[11:14], v2 offset:400
	s_waitcnt vmcnt(0) lgkmcnt(1)
	v_mul_f64 v[17:18], v[9:10], v[5:6]
	v_mul_f64 v[5:6], v[7:8], v[5:6]
	v_fma_f64 v[7:8], v[7:8], v[3:4], v[17:18]
	v_fma_f64 v[5:6], v[3:4], v[9:10], -v[5:6]
	v_mul_f64 v[3:4], v[7:8], s[2:3]
	v_mul_f64 v[5:6], v[5:6], s[2:3]
	v_add_co_u32 v7, vcc_lo, v15, s5
	v_add_co_ci_u32_e32 v8, vcc_lo, s4, v16, vcc_lo
	v_add_co_u32 v15, vcc_lo, v7, s5
	v_add_co_ci_u32_e32 v16, vcc_lo, s4, v8, vcc_lo
	global_store_dwordx4 v[7:8], v[3:6], off
	global_load_dwordx4 v[3:6], v255, s[6:7] offset:400
	;; [unrolled: 24-line block ×3, first 2 shown]
	s_waitcnt vmcnt(0) lgkmcnt(0)
	v_mul_f64 v[9:10], v[13:14], v[5:6]
	v_mul_f64 v[5:6], v[11:12], v[5:6]
	v_fma_f64 v[9:10], v[11:12], v[3:4], v[9:10]
	v_fma_f64 v[5:6], v[3:4], v[13:14], -v[5:6]
	v_mul_f64 v[3:4], v[9:10], s[2:3]
	v_mul_f64 v[5:6], v[5:6], s[2:3]
	global_store_dwordx4 v[15:16], v[3:6], off
	global_load_dwordx4 v[3:6], v255, s[6:7] offset:640
	ds_read_b128 v[7:10], v2 offset:640
	ds_read_b128 v[11:14], v2 offset:720
	v_mad_u64_u32 v[15:16], null, 0xa0, s0, v[15:16]
	s_waitcnt vmcnt(0) lgkmcnt(1)
	v_mul_f64 v[17:18], v[9:10], v[5:6]
	v_mul_f64 v[5:6], v[7:8], v[5:6]
	v_fma_f64 v[7:8], v[7:8], v[3:4], v[17:18]
	v_fma_f64 v[5:6], v[3:4], v[9:10], -v[5:6]
	buffer_load_dword v4, off, s[56:59], 0 offset:12 ; 4-byte Folded Reload
	v_mul_f64 v[5:6], v[5:6], s[2:3]
	s_waitcnt vmcnt(0)
	v_mad_u64_u32 v[9:10], null, s0, v4, 0
	v_mov_b32_e32 v3, v10
	v_mad_u64_u32 v[17:18], null, s1, v4, v[3:4]
	v_mul_f64 v[3:4], v[7:8], s[2:3]
	v_mov_b32_e32 v10, v17
	v_lshlrev_b64 v[7:8], 4, v[9:10]
	v_add_co_u32 v7, vcc_lo, v0, v7
	v_add_co_ci_u32_e32 v8, vcc_lo, v1, v8, vcc_lo
	global_store_dwordx4 v[7:8], v[3:6], off
	global_load_dwordx4 v[3:6], v255, s[6:7] offset:720
	s_waitcnt vmcnt(0) lgkmcnt(0)
	v_mul_f64 v[7:8], v[13:14], v[5:6]
	v_mul_f64 v[5:6], v[11:12], v[5:6]
	v_fma_f64 v[7:8], v[11:12], v[3:4], v[7:8]
	v_fma_f64 v[5:6], v[3:4], v[13:14], -v[5:6]
	v_mul_f64 v[3:4], v[7:8], s[2:3]
	v_mul_f64 v[5:6], v[5:6], s[2:3]
	v_mov_b32_e32 v7, v16
	v_mad_u64_u32 v[7:8], null, 0xa0, s1, v[7:8]
	v_mov_b32_e32 v16, v7
	global_store_dwordx4 v[15:16], v[3:6], off
	global_load_dwordx4 v[3:6], v255, s[6:7] offset:800
	ds_read_b128 v[7:10], v2 offset:800
	ds_read_b128 v[11:14], v2 offset:880
	s_waitcnt vmcnt(0) lgkmcnt(1)
	v_mul_f64 v[17:18], v[9:10], v[5:6]
	v_mul_f64 v[5:6], v[7:8], v[5:6]
	v_fma_f64 v[7:8], v[7:8], v[3:4], v[17:18]
	v_fma_f64 v[5:6], v[3:4], v[9:10], -v[5:6]
	v_mul_f64 v[3:4], v[7:8], s[2:3]
	v_mul_f64 v[5:6], v[5:6], s[2:3]
	v_add_co_u32 v7, vcc_lo, v15, s5
	v_add_co_ci_u32_e32 v8, vcc_lo, s4, v16, vcc_lo
	v_add_co_u32 v15, vcc_lo, v7, s5
	v_add_co_ci_u32_e32 v16, vcc_lo, s4, v8, vcc_lo
	global_store_dwordx4 v[7:8], v[3:6], off
	global_load_dwordx4 v[3:6], v255, s[6:7] offset:880
	s_waitcnt vmcnt(0) lgkmcnt(0)
	v_mul_f64 v[9:10], v[13:14], v[5:6]
	v_mul_f64 v[5:6], v[11:12], v[5:6]
	v_fma_f64 v[9:10], v[11:12], v[3:4], v[9:10]
	v_fma_f64 v[5:6], v[3:4], v[13:14], -v[5:6]
	v_mul_f64 v[3:4], v[9:10], s[2:3]
	v_mul_f64 v[5:6], v[5:6], s[2:3]
	global_store_dwordx4 v[15:16], v[3:6], off
	global_load_dwordx4 v[3:6], v255, s[6:7] offset:960
	ds_read_b128 v[7:10], v2 offset:960
	ds_read_b128 v[11:14], v2 offset:1040
	s_waitcnt vmcnt(0) lgkmcnt(1)
	v_mul_f64 v[17:18], v[9:10], v[5:6]
	v_mul_f64 v[5:6], v[7:8], v[5:6]
	v_fma_f64 v[7:8], v[7:8], v[3:4], v[17:18]
	v_fma_f64 v[5:6], v[3:4], v[9:10], -v[5:6]
	v_mul_f64 v[3:4], v[7:8], s[2:3]
	v_mul_f64 v[5:6], v[5:6], s[2:3]
	v_add_co_u32 v7, vcc_lo, v15, s5
	v_add_co_ci_u32_e32 v8, vcc_lo, s4, v16, vcc_lo
	v_add_co_u32 v15, vcc_lo, v7, s5
	v_add_co_ci_u32_e32 v16, vcc_lo, s4, v8, vcc_lo
	global_store_dwordx4 v[7:8], v[3:6], off
	global_load_dwordx4 v[3:6], v255, s[6:7] offset:1040
	s_waitcnt vmcnt(0) lgkmcnt(0)
	v_mul_f64 v[9:10], v[13:14], v[5:6]
	v_mul_f64 v[5:6], v[11:12], v[5:6]
	v_fma_f64 v[9:10], v[11:12], v[3:4], v[9:10]
	v_fma_f64 v[5:6], v[3:4], v[13:14], -v[5:6]
	v_mul_f64 v[3:4], v[9:10], s[2:3]
	v_mul_f64 v[5:6], v[5:6], s[2:3]
	global_store_dwordx4 v[15:16], v[3:6], off
	global_load_dwordx4 v[3:6], v255, s[6:7] offset:1120
	ds_read_b128 v[7:10], v2 offset:1120
	ds_read_b128 v[11:14], v2 offset:1200
	s_waitcnt vmcnt(0) lgkmcnt(1)
	v_mul_f64 v[17:18], v[9:10], v[5:6]
	v_mul_f64 v[5:6], v[7:8], v[5:6]
	v_fma_f64 v[7:8], v[7:8], v[3:4], v[17:18]
	v_fma_f64 v[5:6], v[3:4], v[9:10], -v[5:6]
	v_mul_f64 v[3:4], v[7:8], s[2:3]
	v_mul_f64 v[5:6], v[5:6], s[2:3]
	v_add_co_u32 v7, vcc_lo, v15, s5
	v_add_co_ci_u32_e32 v8, vcc_lo, s4, v16, vcc_lo
	global_store_dwordx4 v[7:8], v[3:6], off
	global_load_dwordx4 v[3:6], v255, s[6:7] offset:1200
	v_add_co_u32 v7, vcc_lo, v7, s5
	v_add_co_ci_u32_e32 v8, vcc_lo, s4, v8, vcc_lo
	s_waitcnt vmcnt(0) lgkmcnt(0)
	v_mul_f64 v[9:10], v[13:14], v[5:6]
	v_mul_f64 v[5:6], v[11:12], v[5:6]
	v_fma_f64 v[9:10], v[11:12], v[3:4], v[9:10]
	v_fma_f64 v[5:6], v[3:4], v[13:14], -v[5:6]
	v_mul_f64 v[3:4], v[9:10], s[2:3]
	v_mul_f64 v[5:6], v[5:6], s[2:3]
	global_store_dwordx4 v[7:8], v[3:6], off
	global_load_dwordx4 v[3:6], v255, s[6:7] offset:1280
	ds_read_b128 v[7:10], v2 offset:1280
	s_waitcnt vmcnt(0) lgkmcnt(0)
	v_mul_f64 v[11:12], v[9:10], v[5:6]
	v_mul_f64 v[5:6], v[7:8], v[5:6]
	v_fma_f64 v[7:8], v[7:8], v[3:4], v[11:12]
	v_fma_f64 v[4:5], v[3:4], v[9:10], -v[5:6]
	buffer_load_dword v3, off, s[56:59], 0 offset:8 ; 4-byte Folded Reload
	v_mul_f64 v[4:5], v[4:5], s[2:3]
	s_waitcnt vmcnt(0)
	v_mad_u64_u32 v[9:10], null, s0, v3, 0
	v_mov_b32_e32 v2, v10
	v_mad_u64_u32 v[10:11], null, s1, v3, v[2:3]
	v_mul_f64 v[2:3], v[7:8], s[2:3]
	v_lshlrev_b64 v[6:7], 4, v[9:10]
	v_add_co_u32 v0, vcc_lo, v0, v6
	v_add_co_ci_u32_e32 v1, vcc_lo, v1, v7, vcc_lo
	global_store_dwordx4 v[0:1], v[2:5], off
.LBB0_15:
	s_endpgm
	.section	.rodata,"a",@progbits
	.p2align	6, 0x0
	.amdhsa_kernel bluestein_single_back_len85_dim1_dp_op_CI_CI
		.amdhsa_group_segment_fixed_size 20400
		.amdhsa_private_segment_fixed_size 156
		.amdhsa_kernarg_size 104
		.amdhsa_user_sgpr_count 6
		.amdhsa_user_sgpr_private_segment_buffer 1
		.amdhsa_user_sgpr_dispatch_ptr 0
		.amdhsa_user_sgpr_queue_ptr 0
		.amdhsa_user_sgpr_kernarg_segment_ptr 1
		.amdhsa_user_sgpr_dispatch_id 0
		.amdhsa_user_sgpr_flat_scratch_init 0
		.amdhsa_user_sgpr_private_segment_size 0
		.amdhsa_wavefront_size32 1
		.amdhsa_uses_dynamic_stack 0
		.amdhsa_system_sgpr_private_segment_wavefront_offset 1
		.amdhsa_system_sgpr_workgroup_id_x 1
		.amdhsa_system_sgpr_workgroup_id_y 0
		.amdhsa_system_sgpr_workgroup_id_z 0
		.amdhsa_system_sgpr_workgroup_info 0
		.amdhsa_system_vgpr_workitem_id 0
		.amdhsa_next_free_vgpr 256
		.amdhsa_next_free_sgpr 60
		.amdhsa_reserve_vcc 1
		.amdhsa_reserve_flat_scratch 0
		.amdhsa_float_round_mode_32 0
		.amdhsa_float_round_mode_16_64 0
		.amdhsa_float_denorm_mode_32 3
		.amdhsa_float_denorm_mode_16_64 3
		.amdhsa_dx10_clamp 1
		.amdhsa_ieee_mode 1
		.amdhsa_fp16_overflow 0
		.amdhsa_workgroup_processor_mode 1
		.amdhsa_memory_ordered 1
		.amdhsa_forward_progress 0
		.amdhsa_shared_vgpr_count 0
		.amdhsa_exception_fp_ieee_invalid_op 0
		.amdhsa_exception_fp_denorm_src 0
		.amdhsa_exception_fp_ieee_div_zero 0
		.amdhsa_exception_fp_ieee_overflow 0
		.amdhsa_exception_fp_ieee_underflow 0
		.amdhsa_exception_fp_ieee_inexact 0
		.amdhsa_exception_int_div_zero 0
	.end_amdhsa_kernel
	.text
.Lfunc_end0:
	.size	bluestein_single_back_len85_dim1_dp_op_CI_CI, .Lfunc_end0-bluestein_single_back_len85_dim1_dp_op_CI_CI
                                        ; -- End function
	.section	.AMDGPU.csdata,"",@progbits
; Kernel info:
; codeLenInByte = 20116
; NumSgprs: 62
; NumVgprs: 256
; ScratchSize: 156
; MemoryBound: 0
; FloatMode: 240
; IeeeMode: 1
; LDSByteSize: 20400 bytes/workgroup (compile time only)
; SGPRBlocks: 7
; VGPRBlocks: 31
; NumSGPRsForWavesPerEU: 62
; NumVGPRsForWavesPerEU: 256
; Occupancy: 4
; WaveLimiterHint : 1
; COMPUTE_PGM_RSRC2:SCRATCH_EN: 1
; COMPUTE_PGM_RSRC2:USER_SGPR: 6
; COMPUTE_PGM_RSRC2:TRAP_HANDLER: 0
; COMPUTE_PGM_RSRC2:TGID_X_EN: 1
; COMPUTE_PGM_RSRC2:TGID_Y_EN: 0
; COMPUTE_PGM_RSRC2:TGID_Z_EN: 0
; COMPUTE_PGM_RSRC2:TIDIG_COMP_CNT: 0
	.text
	.p2alignl 6, 3214868480
	.fill 48, 4, 3214868480
	.type	__hip_cuid_953d4f05c5d71061,@object ; @__hip_cuid_953d4f05c5d71061
	.section	.bss,"aw",@nobits
	.globl	__hip_cuid_953d4f05c5d71061
__hip_cuid_953d4f05c5d71061:
	.byte	0                               ; 0x0
	.size	__hip_cuid_953d4f05c5d71061, 1

	.ident	"AMD clang version 19.0.0git (https://github.com/RadeonOpenCompute/llvm-project roc-6.4.0 25133 c7fe45cf4b819c5991fe208aaa96edf142730f1d)"
	.section	".note.GNU-stack","",@progbits
	.addrsig
	.addrsig_sym __hip_cuid_953d4f05c5d71061
	.amdgpu_metadata
---
amdhsa.kernels:
  - .args:
      - .actual_access:  read_only
        .address_space:  global
        .offset:         0
        .size:           8
        .value_kind:     global_buffer
      - .actual_access:  read_only
        .address_space:  global
        .offset:         8
        .size:           8
        .value_kind:     global_buffer
      - .actual_access:  read_only
        .address_space:  global
        .offset:         16
        .size:           8
        .value_kind:     global_buffer
      - .actual_access:  read_only
        .address_space:  global
        .offset:         24
        .size:           8
        .value_kind:     global_buffer
      - .actual_access:  read_only
        .address_space:  global
        .offset:         32
        .size:           8
        .value_kind:     global_buffer
      - .offset:         40
        .size:           8
        .value_kind:     by_value
      - .address_space:  global
        .offset:         48
        .size:           8
        .value_kind:     global_buffer
      - .address_space:  global
        .offset:         56
        .size:           8
        .value_kind:     global_buffer
      - .address_space:  global
        .offset:         64
        .size:           8
        .value_kind:     global_buffer
      - .address_space:  global
        .offset:         72
        .size:           8
        .value_kind:     global_buffer
      - .offset:         80
        .size:           4
        .value_kind:     by_value
      - .address_space:  global
        .offset:         88
        .size:           8
        .value_kind:     global_buffer
      - .address_space:  global
        .offset:         96
        .size:           8
        .value_kind:     global_buffer
    .group_segment_fixed_size: 20400
    .kernarg_segment_align: 8
    .kernarg_segment_size: 104
    .language:       OpenCL C
    .language_version:
      - 2
      - 0
    .max_flat_workgroup_size: 255
    .name:           bluestein_single_back_len85_dim1_dp_op_CI_CI
    .private_segment_fixed_size: 156
    .sgpr_count:     62
    .sgpr_spill_count: 0
    .symbol:         bluestein_single_back_len85_dim1_dp_op_CI_CI.kd
    .uniform_work_group_size: 1
    .uses_dynamic_stack: false
    .vgpr_count:     256
    .vgpr_spill_count: 38
    .wavefront_size: 32
    .workgroup_processor_mode: 1
amdhsa.target:   amdgcn-amd-amdhsa--gfx1030
amdhsa.version:
  - 1
  - 2
...

	.end_amdgpu_metadata
